;; amdgpu-corpus repo=ROCm/rocFFT kind=compiled arch=gfx950 opt=O3
	.text
	.amdgcn_target "amdgcn-amd-amdhsa--gfx950"
	.amdhsa_code_object_version 6
	.protected	bluestein_single_fwd_len2025_dim1_sp_op_CI_CI ; -- Begin function bluestein_single_fwd_len2025_dim1_sp_op_CI_CI
	.globl	bluestein_single_fwd_len2025_dim1_sp_op_CI_CI
	.p2align	8
	.type	bluestein_single_fwd_len2025_dim1_sp_op_CI_CI,@function
bluestein_single_fwd_len2025_dim1_sp_op_CI_CI: ; @bluestein_single_fwd_len2025_dim1_sp_op_CI_CI
; %bb.0:
	s_load_dwordx4 s[16:19], s[0:1], 0x28
	v_mul_u32_u24_e32 v1, 0x1e6, v0
	v_add_u32_sdwa v108, s2, v1 dst_sel:DWORD dst_unused:UNUSED_PAD src0_sel:DWORD src1_sel:WORD_1
	v_mov_b32_e32 v109, 0
	s_waitcnt lgkmcnt(0)
	v_cmp_gt_u64_e32 vcc, s[16:17], v[108:109]
	s_and_saveexec_b64 s[2:3], vcc
	s_cbranch_execz .LBB0_2
; %bb.1:
	s_load_dwordx4 s[12:15], s[0:1], 0x18
	s_load_dwordx4 s[8:11], s[0:1], 0x0
	v_mov_b32_e32 v2, s18
	v_mov_b32_e32 v3, s19
	;; [unrolled: 1-line block ×3, first 2 shown]
	s_waitcnt lgkmcnt(0)
	s_load_dwordx4 s[4:7], s[14:15], 0x0
	s_waitcnt lgkmcnt(0)
	v_mad_u64_u32 v[110:111], s[2:3], s6, v108, 0
	s_load_dwordx4 s[12:15], s[12:13], 0x0
	v_mov_b32_e32 v6, v111
	v_mad_u64_u32 v[114:115], s[2:3], s7, v108, v[6:7]
	v_mov_b32_e32 v115, 0x1518
	s_waitcnt lgkmcnt(0)
	v_mad_u64_u32 v[4:5], s[2:3], s14, v108, 0
	v_mov_b32_e32 v6, v5
	v_mad_u64_u32 v[6:7], s[2:3], s15, v108, v[6:7]
	s_movk_i32 s2, 0x87
	s_nop 0
	v_mul_lo_u16_sdwa v1, v1, s2 dst_sel:DWORD dst_unused:UNUSED_PAD src0_sel:WORD_1 src1_sel:DWORD
	v_sub_u16_e32 v112, v0, v1
	v_mad_u64_u32 v[0:1], s[2:3], s12, v112, 0
	v_mov_b32_e32 v5, v6
	v_mov_b32_e32 v6, v1
	v_mad_u64_u32 v[6:7], s[2:3], s13, v112, v[6:7]
	v_mov_b32_e32 v1, v6
	v_lshl_add_u64 v[2:3], v[4:5], 3, v[2:3]
	v_lshl_add_u64 v[2:3], v[0:1], 3, v[2:3]
	v_mad_u64_u32 v[4:5], s[2:3], s12, v115, v[2:3]
	v_lshlrev_b32_e32 v108, 3, v112
	s_mul_i32 s2, s13, 0x1518
	v_lshl_add_u64 v[146:147], s[8:9], 0, v[108:109]
	v_add_u32_e32 v5, s2, v5
	s_movk_i32 s3, 0x1000
	v_add_co_u32_e32 v6, vcc, s3, v146
	v_mad_u64_u32 v[8:9], s[6:7], s12, v115, v[4:5]
	s_nop 0
	v_addc_co_u32_e32 v7, vcc, 0, v147, vcc
	s_movk_i32 s6, 0x2000
	global_load_dwordx2 v[0:1], v[2:3], off
	v_add_u32_e32 v9, s2, v9
	global_load_dwordx2 v[2:3], v[4:5], off
	v_add_co_u32_e32 v4, vcc, s6, v146
	s_mul_i32 s6, s13, 0xffffda08
	global_load_dwordx2 v[116:117], v[6:7], off offset:1304
	v_addc_co_u32_e32 v5, vcc, 0, v147, vcc
	global_load_dwordx2 v[144:145], v108, s[8:9]
	s_sub_i32 s13, s6, s12
	global_load_dwordx2 v[138:139], v108, s[8:9] offset:1080
	global_load_dwordx2 v[120:121], v108, s[8:9] offset:2160
	global_load_dwordx2 v[142:143], v[4:5], off offset:2608
	global_load_dwordx2 v[128:129], v[4:5], off offset:3688
	;; [unrolled: 1-line block ×4, first 2 shown]
	global_load_dwordx2 v[10:11], v[8:9], off
	v_mad_u64_u32 v[8:9], s[6:7], s12, v149, v[8:9]
	v_add_u32_e32 v9, s13, v9
	v_mad_u64_u32 v[12:13], s[6:7], s12, v115, v[8:9]
	v_add_u32_e32 v13, s2, v13
	global_load_dwordx2 v[8:9], v[8:9], off
	s_movk_i32 s14, 0x3000
	global_load_dwordx2 v[14:15], v[12:13], off
	v_mad_u64_u32 v[12:13], s[6:7], s12, v115, v[12:13]
	v_add_u32_e32 v13, s2, v13
	global_load_dwordx2 v[16:17], v[12:13], off
	v_mad_u64_u32 v[12:13], s[6:7], s12, v149, v[12:13]
	v_add_u32_e32 v13, s13, v13
	;; [unrolled: 3-line block ×3, first 2 shown]
	global_load_dwordx2 v[20:21], v[12:13], off
	v_mad_u64_u32 v[12:13], s[6:7], s12, v115, v[12:13]
	v_add_co_u32_e32 v156, vcc, s14, v146
	v_add_u32_e32 v13, s2, v13
	s_nop 0
	v_addc_co_u32_e32 v157, vcc, 0, v147, vcc
	global_load_dwordx2 v[22:23], v[12:13], off
	global_load_dwordx2 v[140:141], v[156:157], off offset:672
	global_load_dwordx2 v[134:135], v108, s[8:9] offset:3240
	global_load_dwordx2 v[118:119], v[6:7], off offset:224
	v_mad_u64_u32 v[6:7], s[6:7], s12, v149, v[12:13]
	v_add_u32_e32 v7, s13, v7
	global_load_dwordx2 v[12:13], v[6:7], off
	global_load_dwordx2 v[126:127], v[4:5], off offset:448
	global_load_dwordx2 v[130:131], v[156:157], off offset:1752
	v_mad_u64_u32 v[6:7], s[6:7], s12, v115, v[6:7]
	v_add_u32_e32 v7, s2, v7
	global_load_dwordx2 v[24:25], v[6:7], off
	v_mad_u64_u32 v[6:7], s[6:7], s12, v115, v[6:7]
	v_add_u32_e32 v7, s2, v7
	global_load_dwordx2 v[26:27], v[6:7], off
	;; [unrolled: 3-line block ×3, first 2 shown]
	global_load_dwordx2 v[132:133], v[4:5], off offset:1528
	v_mad_u64_u32 v[4:5], s[6:7], s12, v115, v[6:7]
	v_add_u32_e32 v5, s2, v5
	global_load_dwordx2 v[6:7], v[4:5], off
	global_load_dwordx2 v[124:125], v[156:157], off offset:2832
	v_mad_u64_u32 v[4:5], s[6:7], s12, v115, v[4:5]
	v_add_u32_e32 v5, s2, v5
	global_load_dwordx2 v[4:5], v[4:5], off
	v_add_u32_e32 v155, 0x1800, v108
	v_add_u32_e32 v163, 0x2c00, v108
	;; [unrolled: 1-line block ×7, first 2 shown]
	s_mov_b32 s2, 0x3f5db3d7
	v_add_u32_e32 v159, 0x3000, v108
	s_mov_b32 s6, 0
	v_mov_b32_e32 v113, s6
	s_mov_b64 s[6:7], 0x87
	v_lshl_add_u64 v[76:77], v[112:113], 0, s[6:7]
	s_mov_b64 s[6:7], 0x10e
	v_lshl_add_u64 v[96:97], v[112:113], 0, s[6:7]
	;; [unrolled: 2-line block ×4, first 2 shown]
	s_mov_b32 s6, 0xaaab
	s_mov_b32 s12, 0x3f167918
	;; [unrolled: 1-line block ×3, first 2 shown]
	s_movk_i32 s14, 0xffa6
	s_waitcnt vmcnt(26)
	v_mul_f32_e32 v30, v1, v145
	v_mul_f32_e32 v31, v0, v145
	v_fmac_f32_e32 v30, v0, v144
	v_fma_f32 v31, v1, v144, -v31
	v_mul_f32_e32 v0, v3, v117
	v_mul_f32_e32 v1, v2, v117
	v_fmac_f32_e32 v0, v2, v116
	v_fma_f32 v1, v3, v116, -v1
	ds_write_b64 v108, v[0:1] offset:5400
	s_waitcnt vmcnt(19)
	v_mul_f32_e32 v0, v10, v143
	v_fma_f32 v1, v11, v142, -v0
	v_mul_f32_e32 v0, v11, v143
	v_fmac_f32_e32 v0, v10, v142
	ds_write_b64 v108, v[0:1] offset:10800
	s_waitcnt vmcnt(18)
	v_mul_f32_e32 v0, v8, v139
	v_fma_f32 v1, v9, v138, -v0
	v_mul_f32_e32 v0, v9, v139
	v_fmac_f32_e32 v0, v8, v138
	ds_write2_b64 v108, v[30:31], v[0:1] offset1:135
	s_waitcnt vmcnt(17)
	v_mul_f32_e32 v0, v15, v137
	v_mul_f32_e32 v1, v14, v137
	v_fmac_f32_e32 v0, v14, v136
	v_fma_f32 v1, v15, v136, -v1
	s_waitcnt vmcnt(14)
	v_mul_f32_e32 v10, v21, v123
	v_mul_f32_e32 v11, v20, v123
	v_fmac_f32_e32 v10, v20, v122
	v_fma_f32 v11, v21, v122, -v11
	v_mul_f32_e32 v2, v17, v129
	v_mul_f32_e32 v3, v16, v129
	ds_write2_b64 v155, v[0:1], v[10:11] offset0:42 offset1:177
	v_fmac_f32_e32 v2, v16, v128
	s_waitcnt vmcnt(12)
	v_mul_f32_e32 v0, v23, v141
	v_mul_f32_e32 v1, v22, v141
	v_fma_f32 v3, v17, v128, -v3
	v_fmac_f32_e32 v0, v22, v140
	v_fma_f32 v1, v23, v140, -v1
	v_mul_f32_e32 v8, v19, v121
	v_mul_f32_e32 v9, v18, v121
	ds_write2_b64 v163, v[2:3], v[0:1] offset0:77 offset1:212
	s_waitcnt vmcnt(9)
	v_mul_f32_e32 v0, v13, v135
	v_mul_f32_e32 v1, v12, v135
	v_fmac_f32_e32 v8, v18, v120
	v_fma_f32 v9, v19, v120, -v9
	v_fmac_f32_e32 v0, v12, v134
	v_fma_f32 v1, v13, v134, -v1
	ds_write2_b64 v153, v[8:9], v[0:1] offset0:14 offset1:149
	s_waitcnt vmcnt(6)
	v_mul_f32_e32 v0, v25, v127
	s_waitcnt vmcnt(4)
	v_mul_f32_e32 v8, v29, v119
	v_mul_f32_e32 v9, v28, v119
	v_fmac_f32_e32 v8, v28, v118
	v_fma_f32 v9, v29, v118, -v9
	ds_write_b64 v108, v[8:9] offset:4320
	s_waitcnt vmcnt(2)
	v_mul_f32_e32 v8, v7, v133
	v_mul_f32_e32 v1, v24, v127
	v_fmac_f32_e32 v8, v6, v132
	v_mul_f32_e32 v6, v6, v133
	v_fmac_f32_e32 v0, v24, v126
	v_fma_f32 v1, v25, v126, -v1
	v_fma_f32 v9, v7, v132, -v6
	v_mul_f32_e32 v2, v27, v131
	v_mul_f32_e32 v3, v26, v131
	ds_write2_b64 v151, v[0:1], v[8:9] offset0:56 offset1:191
	s_waitcnt vmcnt(0)
	v_mul_f32_e32 v0, v5, v125
	v_mul_f32_e32 v1, v4, v125
	v_fmac_f32_e32 v2, v26, v130
	v_fma_f32 v3, v27, v130, -v3
	v_fmac_f32_e32 v0, v4, v124
	v_fma_f32 v1, v5, v124, -v1
	ds_write2_b64 v111, v[2:3], v[0:1] offset0:91 offset1:226
	s_waitcnt lgkmcnt(0)
	s_barrier
	ds_read2_b64 v[0:3], v161 offset0:70 offset1:205
	ds_read2_b64 v[4:7], v165 offset0:28 offset1:163
	ds_read2_b64 v[8:11], v108 offset1:135
	s_mov_b32 s15, -1
	s_load_dwordx2 s[0:1], s[0:1], 0x38
	s_waitcnt lgkmcnt(0)
	v_pk_add_f32 v[12:13], v[6:7], v[0:1]
	v_pk_add_f32 v[14:15], v[6:7], v[0:1] neg_lo:[0,1] neg_hi:[0,1]
	v_pk_fma_f32 v[12:13], v[12:13], 0.5, v[8:9] op_sel_hi:[1,0,1] neg_lo:[1,0,0] neg_hi:[1,0,0]
	v_pk_mul_f32 v[14:15], v[14:15], s[2:3] op_sel_hi:[1,0]
	v_pk_add_f32 v[6:7], v[8:9], v[6:7]
	v_pk_add_f32 v[24:25], v[12:13], v[14:15] op_sel:[0,1] op_sel_hi:[1,0]
	v_pk_add_f32 v[26:27], v[12:13], v[14:15] op_sel:[0,1] op_sel_hi:[1,0] neg_lo:[0,1] neg_hi:[0,1]
	v_mul_lo_u16_e32 v12, 3, v112
	v_lshlrev_b32_e32 v167, 3, v12
	v_pk_add_f32 v[0:1], v[6:7], v[0:1]
	ds_read_b64 v[28:29], v108 offset:15120
	ds_read2_b64 v[6:9], v155 offset0:42 offset1:177
	ds_read2_b64 v[12:15], v153 offset0:14 offset1:149
	;; [unrolled: 1-line block ×4, first 2 shown]
	v_mov_b32_e32 v30, v24
	v_mov_b32_e32 v31, v27
	s_waitcnt lgkmcnt(0)
	s_barrier
	ds_write2_b64 v167, v[0:1], v[30:31] offset1:1
	v_pk_add_f32 v[0:1], v[6:7], v[2:3]
	v_mov_b32_e32 v27, v25
	v_pk_fma_f32 v[0:1], v[0:1], 0.5, v[10:11] op_sel_hi:[1,0,1] neg_lo:[1,0,0] neg_hi:[1,0,0]
	v_pk_add_f32 v[10:11], v[10:11], v[6:7]
	ds_write_b64 v167, v[26:27] offset:16
	v_pk_add_f32 v[10:11], v[10:11], v[2:3]
	v_pk_add_f32 v[2:3], v[6:7], v[2:3] neg_lo:[0,1] neg_hi:[0,1]
	s_nop 0
	v_pk_mul_f32 v[2:3], v[2:3], s[2:3] op_sel_hi:[1,0]
	s_nop 0
	v_pk_add_f32 v[6:7], v[0:1], v[2:3] op_sel:[0,1] op_sel_hi:[1,0]
	v_pk_add_f32 v[0:1], v[0:1], v[2:3] op_sel:[0,1] op_sel_hi:[1,0] neg_lo:[0,1] neg_hi:[0,1]
	v_mul_u32_u24_e32 v2, 3, v76
	v_lshlrev_b32_e32 v169, 3, v2
	v_mov_b32_e32 v2, v6
	v_mov_b32_e32 v3, v1
	ds_write2_b64 v169, v[10:11], v[2:3] offset1:1
	v_pk_add_f32 v[2:3], v[12:13], v[8:9]
	v_pk_add_f32 v[10:11], v[8:9], v[16:17]
	v_pk_add_f32 v[8:9], v[8:9], v[16:17] neg_lo:[0,1] neg_hi:[0,1]
	v_pk_fma_f32 v[10:11], v[10:11], 0.5, v[12:13] op_sel_hi:[1,0,1] neg_lo:[1,0,0] neg_hi:[1,0,0]
	v_pk_mul_f32 v[8:9], v[8:9], s[2:3] op_sel_hi:[1,0]
	v_mov_b32_e32 v1, v7
	v_pk_add_f32 v[12:13], v[10:11], v[8:9] op_sel:[0,1] op_sel_hi:[1,0]
	v_pk_add_f32 v[8:9], v[10:11], v[8:9] op_sel:[0,1] op_sel_hi:[1,0] neg_lo:[0,1] neg_hi:[0,1]
	ds_write_b64 v169, v[0:1] offset:16
	v_mul_u32_u24_e32 v0, 3, v96
	v_lshlrev_b32_e32 v171, 3, v0
	v_pk_add_f32 v[0:1], v[2:3], v[16:17]
	v_mov_b32_e32 v2, v12
	v_mov_b32_e32 v3, v9
	ds_write2_b64 v171, v[0:1], v[2:3] offset1:1
	v_pk_add_f32 v[0:1], v[20:21], v[18:19]
	v_pk_add_f32 v[6:7], v[20:21], v[18:19] neg_lo:[0,1] neg_hi:[0,1]
	v_pk_fma_f32 v[0:1], v[0:1], 0.5, v[14:15] op_sel_hi:[1,0,1] neg_lo:[1,0,0] neg_hi:[1,0,0]
	v_pk_mul_f32 v[6:7], v[6:7], s[2:3] op_sel_hi:[1,0]
	v_pk_add_f32 v[2:3], v[14:15], v[20:21]
	v_pk_add_f32 v[10:11], v[0:1], v[6:7] op_sel:[0,1] op_sel_hi:[1,0]
	v_pk_add_f32 v[0:1], v[0:1], v[6:7] op_sel:[0,1] op_sel_hi:[1,0] neg_lo:[0,1] neg_hi:[0,1]
	v_mul_u32_u24_e32 v6, 3, v100
	v_pk_add_f32 v[2:3], v[2:3], v[18:19]
	v_mov_b32_e32 v9, v13
	v_lshlrev_b32_e32 v173, 3, v6
	v_mov_b32_e32 v6, v10
	v_mov_b32_e32 v7, v1
	ds_write_b64 v171, v[8:9] offset:16
	ds_write2_b64 v173, v[2:3], v[6:7] offset1:1
	v_pk_add_f32 v[2:3], v[22:23], v[28:29]
	v_pk_add_f32 v[6:7], v[22:23], v[28:29] neg_lo:[0,1] neg_hi:[0,1]
	v_mov_b32_e32 v1, v11
	v_pk_fma_f32 v[2:3], v[2:3], 0.5, v[4:5] op_sel_hi:[1,0,1] neg_lo:[1,0,0] neg_hi:[1,0,0]
	ds_write_b64 v173, v[0:1] offset:16
	v_pk_mul_f32 v[0:1], v[6:7], s[2:3] op_sel_hi:[1,0]
	v_pk_add_f32 v[4:5], v[4:5], v[22:23]
	v_pk_add_f32 v[6:7], v[2:3], v[0:1] op_sel:[0,1] op_sel_hi:[1,0]
	v_pk_add_f32 v[0:1], v[2:3], v[0:1] op_sel:[0,1] op_sel_hi:[1,0] neg_lo:[0,1] neg_hi:[0,1]
	v_mul_u32_u24_e32 v2, 3, v104
	v_lshlrev_b32_e32 v175, 3, v2
	v_mov_b32_e32 v3, v1
	v_mov_b32_e32 v1, v7
	ds_write_b64 v175, v[0:1] offset:16
	v_mul_u32_u24_sdwa v1, v104, s6 dst_sel:DWORD dst_unused:UNUSED_PAD src0_sel:WORD_0 src1_sel:DWORD
	v_lshrrev_b32_e32 v67, 17, v1
	v_mul_lo_u16_e32 v1, 3, v67
	v_sub_u16_e32 v68, v104, v1
	v_lshlrev_b16_e32 v1, 1, v68
	v_pk_add_f32 v[4:5], v[4:5], v[28:29]
	v_mov_b32_e32 v2, v6
	v_mul_u32_u24_sdwa v0, v100, s6 dst_sel:DWORD dst_unused:UNUSED_PAD src0_sel:WORD_0 src1_sel:DWORD
	v_lshlrev_b32_e32 v1, 3, v1
	v_mul_u32_u24_sdwa v12, v76, s6 dst_sel:DWORD dst_unused:UNUSED_PAD src0_sel:WORD_0 src1_sel:DWORD
	ds_write2_b64 v175, v[4:5], v[2:3] offset1:1
	s_waitcnt lgkmcnt(0)
	s_barrier
	v_lshrrev_b32_e32 v66, 17, v0
	global_load_dwordx4 v[4:7], v1, s[10:11]
	v_lshrrev_b32_e32 v72, 17, v12
	v_mul_lo_u16_e32 v0, 3, v66
	v_mul_lo_u16_e32 v12, 3, v72
	v_sub_u16_e32 v69, v100, v0
	v_sub_u16_e32 v73, v76, v12
	v_lshlrev_b16_e32 v0, 1, v69
	v_lshlrev_b16_e32 v12, 1, v73
	v_lshlrev_b32_e32 v0, 3, v0
	v_mul_u32_u24_sdwa v8, v96, s6 dst_sel:DWORD dst_unused:UNUSED_PAD src0_sel:WORD_0 src1_sel:DWORD
	v_lshlrev_b32_e32 v12, 3, v12
	global_load_dwordx4 v[12:15], v12, s[10:11]
	v_lshrrev_b32_e32 v70, 17, v8
	global_load_dwordx4 v[0:3], v0, s[10:11]
	v_mul_lo_u16_e32 v8, 3, v70
	v_sub_u16_e32 v71, v96, v8
	v_lshlrev_b16_e32 v8, 1, v71
	v_lshlrev_b32_e32 v8, 3, v8
	global_load_dwordx4 v[8:11], v8, s[10:11]
	s_movk_i32 s6, 0xab
	v_mul_lo_u16_sdwa v16, v112, s6 dst_sel:DWORD dst_unused:UNUSED_PAD src0_sel:BYTE_0 src1_sel:DWORD
	v_lshrrev_b16_e32 v64, 9, v16
	v_mul_lo_u16_e32 v16, 3, v64
	v_sub_u16_e32 v16, v112, v16
	v_and_b32_e32 v65, 0xff, v16
	v_lshlrev_b32_e32 v16, 4, v65
	global_load_dwordx4 v[20:23], v16, s[10:11]
	ds_read2_b64 v[16:19], v151 offset0:56 offset1:191
	s_mov_b32 s6, 0xe38f
	s_waitcnt vmcnt(4) lgkmcnt(0)
	v_pk_mul_f32 v[24:25], v[18:19], v[4:5] op_sel:[0,1]
	s_nop 0
	v_pk_fma_f32 v[32:33], v[18:19], v[4:5], v[24:25] op_sel:[0,0,1] op_sel_hi:[1,1,0] neg_lo:[0,0,1] neg_hi:[0,0,1]
	v_pk_fma_f32 v[34:35], v[18:19], v[4:5], v[24:25] op_sel:[0,0,1] op_sel_hi:[1,0,0]
	ds_read2_b64 v[24:27], v159 offset0:84 offset1:219
	v_mov_b32_e32 v166, v7
	v_mov_b32_e32 v33, v35
	s_waitcnt vmcnt(3)
	v_mov_b32_e32 v148, v15
	s_waitcnt vmcnt(2)
	v_pk_mul_f32 v[18:19], v[16:17], v[0:1] op_sel:[0,1]
	v_mov_b32_e32 v154, v3
	v_pk_fma_f32 v[36:37], v[16:17], v[0:1], v[18:19] op_sel:[0,0,1] op_sel_hi:[1,1,0] neg_lo:[0,0,1] neg_hi:[0,0,1]
	v_pk_fma_f32 v[38:39], v[16:17], v[0:1], v[18:19] op_sel:[0,0,1] op_sel_hi:[1,0,0]
	s_waitcnt lgkmcnt(0)
	v_pk_mul_f32 v[16:17], v[26:27], v[154:155] op_sel_hi:[1,0]
	s_waitcnt vmcnt(1)
	v_mov_b32_e32 v152, v11
	v_pk_fma_f32 v[40:41], v[26:27], v[2:3], v[16:17] op_sel:[0,0,1] op_sel_hi:[1,1,0] neg_lo:[0,0,1] neg_hi:[0,0,1]
	v_pk_fma_f32 v[42:43], v[26:27], v[2:3], v[16:17] op_sel:[0,0,1] op_sel_hi:[1,0,0]
	ds_read2_b64 v[16:19], v155 offset0:42 offset1:177
	v_pk_mul_f32 v[26:27], v[24:25], v[152:153] op_sel_hi:[1,0]
	v_mul_u32_u24_e32 v3, 9, v64
	v_pk_fma_f32 v[44:45], v[24:25], v[10:11], v[26:27] op_sel:[0,0,1] op_sel_hi:[1,1,0] neg_lo:[0,0,1] neg_hi:[0,0,1]
	v_pk_fma_f32 v[46:47], v[24:25], v[10:11], v[26:27] op_sel:[0,0,1] op_sel_hi:[1,0,0]
	s_waitcnt lgkmcnt(0)
	v_pk_mul_f32 v[24:25], v[18:19], v[8:9] op_sel:[0,1]
	s_waitcnt vmcnt(0)
	v_mov_b32_e32 v150, v23
	v_pk_fma_f32 v[48:49], v[18:19], v[8:9], v[24:25] op_sel:[0,0,1] op_sel_hi:[1,1,0] neg_lo:[0,0,1] neg_hi:[0,0,1]
	v_pk_fma_f32 v[50:51], v[18:19], v[8:9], v[24:25] op_sel:[0,0,1] op_sel_hi:[1,0,0]
	ds_read2_b64 v[24:27], v161 offset0:70 offset1:205
	v_pk_mul_f32 v[18:19], v[16:17], v[12:13] op_sel:[0,1]
	v_add_lshl_u32 v3, v3, v65, 3
	v_pk_fma_f32 v[52:53], v[16:17], v[12:13], v[18:19] op_sel:[0,0,1] op_sel_hi:[1,1,0] neg_lo:[0,0,1] neg_hi:[0,0,1]
	v_pk_fma_f32 v[54:55], v[16:17], v[12:13], v[18:19] op_sel:[0,0,1] op_sel_hi:[1,0,0]
	s_waitcnt lgkmcnt(0)
	v_pk_mul_f32 v[16:17], v[26:27], v[148:149] op_sel_hi:[1,0]
	v_mov_b32_e32 v53, v55
	v_pk_fma_f32 v[56:57], v[26:27], v[14:15], v[16:17] op_sel:[0,0,1] op_sel_hi:[1,1,0] neg_lo:[0,0,1] neg_hi:[0,0,1]
	v_pk_fma_f32 v[58:59], v[26:27], v[14:15], v[16:17] op_sel:[0,0,1] op_sel_hi:[1,0,0]
	ds_read2_b64 v[16:19], v165 offset0:28 offset1:163
	v_pk_mul_f32 v[26:27], v[24:25], v[150:151] op_sel_hi:[1,0]
	v_mov_b32_e32 v57, v59
	v_pk_fma_f32 v[28:29], v[24:25], v[22:23], v[26:27] op_sel:[0,0,1] op_sel_hi:[1,1,0] neg_lo:[0,0,1] neg_hi:[0,0,1]
	v_pk_fma_f32 v[30:31], v[24:25], v[22:23], v[26:27] op_sel:[0,0,1] op_sel_hi:[1,0,0]
	ds_read2_b64 v[24:27], v108 offset1:135
	s_waitcnt lgkmcnt(1)
	v_pk_mul_f32 v[60:61], v[18:19], v[20:21] op_sel:[0,1]
	v_mov_b32_e32 v29, v31
	v_pk_fma_f32 v[62:63], v[18:19], v[20:21], v[60:61] op_sel:[0,0,1] op_sel_hi:[1,1,0] neg_lo:[0,0,1] neg_hi:[0,0,1]
	v_pk_fma_f32 v[18:19], v[18:19], v[20:21], v[60:61] op_sel:[0,0,1] op_sel_hi:[1,0,0]
	v_mad_legacy_u16 v11, v72, 9, v73
	v_mov_b32_e32 v63, v19
	s_waitcnt lgkmcnt(0)
	v_pk_add_f32 v[18:19], v[24:25], v[62:63]
	v_pk_add_f32 v[30:31], v[62:63], v[28:29]
	;; [unrolled: 1-line block ×3, first 2 shown]
	v_pk_add_f32 v[28:29], v[62:63], v[28:29] neg_lo:[0,1] neg_hi:[0,1]
	v_pk_fma_f32 v[24:25], v[30:31], 0.5, v[24:25] op_sel_hi:[1,0,1] neg_lo:[1,0,0] neg_hi:[1,0,0]
	v_pk_mul_f32 v[28:29], v[28:29], s[2:3] op_sel_hi:[1,0]
	v_lshlrev_b32_e32 v11, 3, v11
	v_pk_add_f32 v[60:61], v[24:25], v[28:29] op_sel:[0,1] op_sel_hi:[1,0]
	v_pk_add_f32 v[24:25], v[24:25], v[28:29] op_sel:[0,1] op_sel_hi:[1,0] neg_lo:[0,1] neg_hi:[0,1]
	v_mov_b32_e32 v64, v60
	v_mov_b32_e32 v65, v25
	ds_read_b64 v[62:63], v108 offset:15120
	ds_read2_b64 v[28:31], v153 offset0:14 offset1:149
	s_waitcnt lgkmcnt(0)
	s_barrier
	ds_write2_b64 v3, v[18:19], v[64:65] offset1:3
	v_pk_add_f32 v[18:19], v[52:53], v[56:57]
	v_mov_b32_e32 v25, v61
	v_pk_fma_f32 v[18:19], v[18:19], 0.5, v[26:27] op_sel_hi:[1,0,1] neg_lo:[1,0,0] neg_hi:[1,0,0]
	v_pk_add_f32 v[26:27], v[26:27], v[52:53]
	v_pk_add_f32 v[52:53], v[52:53], v[56:57] neg_lo:[0,1] neg_hi:[0,1]
	ds_write_b64 v3, v[24:25] offset:48
	v_pk_mul_f32 v[52:53], v[52:53], s[2:3] op_sel_hi:[1,0]
	v_pk_add_f32 v[24:25], v[26:27], v[56:57]
	v_pk_add_f32 v[54:55], v[18:19], v[52:53] op_sel:[0,1] op_sel_hi:[1,0] neg_lo:[0,1] neg_hi:[0,1]
	v_pk_add_f32 v[18:19], v[18:19], v[52:53] op_sel:[0,1] op_sel_hi:[1,0]
	v_mov_b32_e32 v27, v55
	v_mov_b32_e32 v26, v18
	;; [unrolled: 1-line block ×4, first 2 shown]
	ds_write2_b64 v11, v[24:25], v[26:27] offset1:3
	v_pk_add_f32 v[24:25], v[48:49], v[44:45]
	v_pk_add_f32 v[26:27], v[48:49], v[44:45] neg_lo:[0,1] neg_hi:[0,1]
	v_pk_fma_f32 v[24:25], v[24:25], 0.5, v[28:29] op_sel_hi:[1,0,1] neg_lo:[1,0,0] neg_hi:[1,0,0]
	v_pk_mul_f32 v[26:27], v[26:27], s[2:3] op_sel_hi:[1,0]
	v_mov_b32_e32 v55, v19
	v_pk_add_f32 v[46:47], v[24:25], v[26:27] op_sel:[0,1] op_sel_hi:[1,0] neg_lo:[0,1] neg_hi:[0,1]
	v_pk_add_f32 v[24:25], v[24:25], v[26:27] op_sel:[0,1] op_sel_hi:[1,0]
	v_pk_add_f32 v[18:19], v[28:29], v[48:49]
	v_mad_legacy_u16 v15, v70, 9, v71
	v_pk_add_f32 v[18:19], v[18:19], v[44:45]
	v_lshlrev_b32_e32 v15, 3, v15
	v_mov_b32_e32 v26, v24
	v_mov_b32_e32 v27, v47
	;; [unrolled: 1-line block ×4, first 2 shown]
	ds_write_b64 v11, v[54:55] offset:48
	ds_write2_b64 v15, v[18:19], v[26:27] offset1:3
	v_pk_add_f32 v[18:19], v[36:37], v[40:41]
	v_pk_add_f32 v[28:29], v[36:37], v[40:41] neg_lo:[0,1] neg_hi:[0,1]
	v_pk_fma_f32 v[18:19], v[18:19], 0.5, v[30:31] op_sel_hi:[1,0,1] neg_lo:[1,0,0] neg_hi:[1,0,0]
	v_pk_mul_f32 v[28:29], v[28:29], s[2:3] op_sel_hi:[1,0]
	v_pk_add_f32 v[26:27], v[30:31], v[36:37]
	v_pk_add_f32 v[30:31], v[18:19], v[28:29] op_sel:[0,1] op_sel_hi:[1,0] neg_lo:[0,1] neg_hi:[0,1]
	v_pk_add_f32 v[18:19], v[18:19], v[28:29] op_sel:[0,1] op_sel_hi:[1,0]
	v_mad_legacy_u16 v23, v66, 9, v69
	v_mov_b32_e32 v47, v25
	v_pk_add_f32 v[24:25], v[26:27], v[40:41]
	v_lshlrev_b32_e32 v23, 3, v23
	v_mov_b32_e32 v26, v18
	v_mov_b32_e32 v27, v31
	ds_write_b64 v15, v[46:47] offset:48
	ds_write2_b64 v23, v[24:25], v[26:27] offset1:3
	v_pk_mul_f32 v[24:25], v[62:63], v[166:167] op_sel_hi:[1,0]
	v_mov_b32_e32 v31, v19
	v_pk_fma_f32 v[26:27], v[62:63], v[6:7], v[24:25] op_sel:[0,0,1] op_sel_hi:[1,1,0] neg_lo:[0,0,1] neg_hi:[0,0,1]
	v_pk_fma_f32 v[24:25], v[62:63], v[6:7], v[24:25] op_sel:[0,0,1] op_sel_hi:[1,0,0]
	v_mad_legacy_u16 v7, v67, 9, v68
	v_mov_b32_e32 v27, v25
	v_pk_add_f32 v[24:25], v[32:33], v[26:27]
	v_pk_add_f32 v[28:29], v[32:33], v[26:27] neg_lo:[0,1] neg_hi:[0,1]
	v_pk_fma_f32 v[24:25], v[24:25], 0.5, v[16:17] op_sel_hi:[1,0,1] neg_lo:[1,0,0] neg_hi:[1,0,0]
	v_pk_mul_f32 v[28:29], v[28:29], s[2:3] op_sel_hi:[1,0]
	v_pk_add_f32 v[16:17], v[16:17], v[32:33]
	v_pk_add_f32 v[32:33], v[24:25], v[28:29] op_sel:[0,1] op_sel_hi:[1,0] neg_lo:[0,1] neg_hi:[0,1]
	v_pk_add_f32 v[24:25], v[24:25], v[28:29] op_sel:[0,1] op_sel_hi:[1,0]
	v_pk_add_f32 v[16:17], v[16:17], v[26:27]
	v_lshlrev_b32_e32 v7, 3, v7
	v_mov_b32_e32 v18, v24
	v_mov_b32_e32 v19, v33
	ds_write_b64 v23, v[30:31] offset:48
	ds_write2_b64 v7, v[16:17], v[18:19] offset1:3
	v_mul_u32_u24_sdwa v16, v76, s6 dst_sel:DWORD dst_unused:UNUSED_PAD src0_sel:WORD_0 src1_sel:DWORD
	v_lshrrev_b32_e32 v97, 19, v16
	v_mul_lo_u16_e32 v16, 9, v97
	v_sub_u16_e32 v101, v76, v16
	v_mul_u32_u24_sdwa v16, v96, s6 dst_sel:DWORD dst_unused:UNUSED_PAD src0_sel:WORD_0 src1_sel:DWORD
	v_lshrrev_b32_e32 v105, 19, v16
	v_mul_lo_u16_e32 v16, 9, v105
	v_sub_u16_e32 v170, v96, v16
	v_lshlrev_b16_e32 v16, 5, v170
	v_mov_b32_e32 v17, v109
	v_mov_b32_e32 v33, v25
	v_lshl_add_u64 v[28:29], s[10:11], 0, v[16:17]
	ds_write_b64 v7, v[32:33] offset:48
	s_waitcnt lgkmcnt(0)
	s_barrier
	global_load_dwordx4 v[16:19], v[28:29], off offset:48
	v_lshlrev_b16_e32 v24, 5, v101
	v_mov_b32_e32 v25, v109
	v_lshl_add_u64 v[30:31], s[10:11], 0, v[24:25]
	global_load_dwordx4 v[24:27], v[30:31], off offset:48
	global_load_dwordx4 v[36:39], v[28:29], off offset:64
	;; [unrolled: 1-line block ×3, first 2 shown]
	v_mov_b32_e32 v28, 57
	v_mul_lo_u16_sdwa v28, v112, v28 dst_sel:DWORD dst_unused:UNUSED_PAD src0_sel:BYTE_0 src1_sel:DWORD
	v_lshrrev_b16_e32 v106, 9, v28
	v_mul_lo_u16_e32 v28, 9, v106
	v_sub_u16_e32 v28, v112, v28
	v_and_b32_e32 v107, 0xff, v28
	v_lshlrev_b32_e32 v40, 5, v107
	global_load_dwordx4 v[28:31], v40, s[10:11] offset:48
	global_load_dwordx4 v[48:51], v40, s[10:11] offset:64
	ds_read2_b64 v[40:43], v165 offset0:28 offset1:163
	ds_read2_b64 v[44:47], v161 offset0:70 offset1:205
	s_mov_b32 s6, 0x3f737871
	s_waitcnt vmcnt(5) lgkmcnt(1)
	v_pk_mul_f32 v[52:53], v[42:43], v[16:17] op_sel:[0,1]
	s_nop 0
	v_pk_fma_f32 v[54:55], v[42:43], v[16:17], v[52:53] op_sel:[0,0,1] op_sel_hi:[1,1,0] neg_lo:[0,0,1] neg_hi:[0,0,1]
	v_pk_fma_f32 v[52:53], v[42:43], v[16:17], v[52:53] op_sel:[0,0,1] op_sel_hi:[1,0,0]
	s_waitcnt vmcnt(4)
	v_pk_mul_f32 v[42:43], v[40:41], v[24:25] op_sel:[0,1]
	v_mov_b32_e32 v160, v27
	v_pk_fma_f32 v[56:57], v[40:41], v[24:25], v[42:43] op_sel:[0,0,1] op_sel_hi:[1,1,0] neg_lo:[0,0,1] neg_hi:[0,0,1]
	v_pk_fma_f32 v[58:59], v[40:41], v[24:25], v[42:43] op_sel:[0,0,1] op_sel_hi:[1,0,0]
	s_waitcnt vmcnt(3) lgkmcnt(0)
	v_pk_mul_f32 v[40:41], v[46:47], v[36:37] op_sel:[0,1]
	v_mov_b32_e32 v162, v19
	v_pk_fma_f32 v[60:61], v[46:47], v[36:37], v[40:41] op_sel:[0,0,1] op_sel_hi:[1,1,0] neg_lo:[0,0,1] neg_hi:[0,0,1]
	v_pk_fma_f32 v[62:63], v[46:47], v[36:37], v[40:41] op_sel:[0,0,1] op_sel_hi:[1,0,0]
	ds_read2_b64 v[40:43], v155 offset0:42 offset1:177
	s_waitcnt vmcnt(2)
	v_pk_mul_f32 v[46:47], v[44:45], v[32:33] op_sel:[0,1]
	s_waitcnt vmcnt(1)
	v_mov_b32_e32 v158, v31
	v_pk_fma_f32 v[64:65], v[44:45], v[32:33], v[46:47] op_sel:[0,0,1] op_sel_hi:[1,1,0] neg_lo:[0,0,1] neg_hi:[0,0,1]
	v_pk_fma_f32 v[66:67], v[44:45], v[32:33], v[46:47] op_sel:[0,0,1] op_sel_hi:[1,0,0]
	s_waitcnt lgkmcnt(0)
	v_pk_mul_f32 v[44:45], v[42:43], v[160:161] op_sel_hi:[1,0]
	v_pk_mul_f32 v[46:47], v[40:41], v[158:159] op_sel_hi:[1,0]
	v_pk_fma_f32 v[68:69], v[42:43], v[26:27], v[44:45] op_sel:[0,0,1] op_sel_hi:[1,1,0] neg_lo:[0,0,1] neg_hi:[0,0,1]
	v_pk_fma_f32 v[70:71], v[42:43], v[26:27], v[44:45] op_sel:[0,0,1] op_sel_hi:[1,0,0]
	ds_read2_b64 v[42:45], v151 offset0:56 offset1:191
	v_pk_fma_f32 v[72:73], v[40:41], v[30:31], v[46:47] op_sel:[0,0,1] op_sel_hi:[1,1,0] neg_lo:[0,0,1] neg_hi:[0,0,1]
	v_pk_fma_f32 v[46:47], v[40:41], v[30:31], v[46:47] op_sel:[0,0,1] op_sel_hi:[1,0,0]
	v_mov_b32_e32 v168, v35
	s_waitcnt vmcnt(0)
	v_mov_b32_e32 v164, v51
	s_waitcnt lgkmcnt(0)
	v_pk_mul_f32 v[40:41], v[42:43], v[162:163] op_sel_hi:[1,0]
	v_pk_mul_f32 v[80:81], v[44:45], v[48:49] op_sel:[0,1]
	v_pk_fma_f32 v[74:75], v[42:43], v[18:19], v[40:41] op_sel:[0,0,1] op_sel_hi:[1,1,0] neg_lo:[0,0,1] neg_hi:[0,0,1]
	v_pk_fma_f32 v[78:79], v[42:43], v[18:19], v[40:41] op_sel:[0,0,1] op_sel_hi:[1,0,0]
	ds_read2_b64 v[40:43], v159 offset0:84 offset1:219
	v_pk_fma_f32 v[82:83], v[44:45], v[48:49], v[80:81] op_sel:[0,0,1] op_sel_hi:[1,1,0] neg_lo:[0,0,1] neg_hi:[0,0,1]
	v_pk_fma_f32 v[80:81], v[44:45], v[48:49], v[80:81] op_sel:[0,0,1] op_sel_hi:[1,0,0]
	v_mov_b32_e32 v73, v47
	v_mov_b32_e32 v83, v81
	s_waitcnt lgkmcnt(0)
	v_pk_mul_f32 v[44:45], v[42:43], v[168:169] op_sel_hi:[1,0]
	v_pk_mul_f32 v[88:89], v[40:41], v[164:165] op_sel_hi:[1,0]
	v_pk_fma_f32 v[84:85], v[42:43], v[34:35], v[44:45] op_sel:[0,0,1] op_sel_hi:[1,1,0] neg_lo:[0,0,1] neg_hi:[0,0,1]
	v_pk_fma_f32 v[86:87], v[42:43], v[34:35], v[44:45] op_sel:[0,0,1] op_sel_hi:[1,0,0]
	ds_read2_b64 v[42:45], v153 offset0:14 offset1:149
	v_pk_fma_f32 v[90:91], v[40:41], v[50:51], v[88:89] op_sel:[0,0,1] op_sel_hi:[1,1,0] neg_lo:[0,0,1] neg_hi:[0,0,1]
	v_pk_fma_f32 v[40:41], v[40:41], v[50:51], v[88:89] op_sel:[0,0,1] op_sel_hi:[1,0,0]
	v_mul_u32_u24_e32 v19, 45, v106
	v_mov_b32_e32 v91, v41
	s_waitcnt lgkmcnt(0)
	v_pk_mul_f32 v[88:89], v[44:45], v[28:29] op_sel:[0,1]
	v_pk_add_f32 v[80:81], v[90:91], v[82:83] neg_lo:[0,1] neg_hi:[0,1]
	v_pk_fma_f32 v[92:93], v[44:45], v[28:29], v[88:89] op_sel:[0,0,1] op_sel_hi:[1,1,0] neg_lo:[0,0,1] neg_hi:[0,0,1]
	v_pk_fma_f32 v[44:45], v[44:45], v[28:29], v[88:89] op_sel:[0,0,1] op_sel_hi:[1,0,0]
	v_add_lshl_u32 v19, v19, v107, 3
	v_mov_b32_e32 v93, v45
	ds_read2_b64 v[44:47], v108 offset1:135
	v_pk_add_f32 v[40:41], v[92:93], v[72:73] neg_lo:[0,1] neg_hi:[0,1]
	v_pk_add_f32 v[88:89], v[92:93], v[90:91] neg_lo:[0,1] neg_hi:[0,1]
	v_pk_add_f32 v[40:41], v[40:41], v[80:81]
	v_pk_add_f32 v[80:81], v[72:73], v[82:83]
	v_pk_mul_f32 v[94:95], v[88:89], s[6:7] op_sel_hi:[1,0]
	s_waitcnt lgkmcnt(0)
	v_pk_fma_f32 v[80:81], v[80:81], 0.5, v[44:45] op_sel_hi:[1,0,1] neg_lo:[1,0,0] neg_hi:[1,0,0]
	ds_read_b64 v[106:107], v108 offset:15120
	v_pk_add_f32 v[98:99], v[80:81], v[94:95] op_sel:[0,1] op_sel_hi:[1,0]
	v_pk_add_f32 v[80:81], v[80:81], v[94:95] op_sel:[0,1] op_sel_hi:[1,0] neg_lo:[0,1] neg_hi:[0,1]
	v_pk_add_f32 v[94:95], v[72:73], v[82:83] neg_lo:[0,1] neg_hi:[0,1]
	s_waitcnt lgkmcnt(0)
	v_pk_mul_f32 v[102:103], v[94:95], s[12:13] op_sel_hi:[1,0]
	s_barrier
	v_pk_add_f32 v[80:81], v[80:81], v[102:103] op_sel:[0,1] op_sel_hi:[1,0] neg_lo:[0,1] neg_hi:[0,1]
	v_pk_add_f32 v[98:99], v[98:99], v[102:103] op_sel:[0,1] op_sel_hi:[1,0]
	v_pk_add_f32 v[102:103], v[44:45], v[92:93]
	v_mov_b32_e32 v176, v98
	v_pk_add_f32 v[102:103], v[102:103], v[72:73]
	v_pk_add_f32 v[72:73], v[72:73], v[92:93] neg_lo:[0,1] neg_hi:[0,1]
	v_pk_add_f32 v[102:103], v[102:103], v[82:83]
	v_pk_add_f32 v[92:93], v[92:93], v[90:91]
	v_pk_add_f32 v[82:83], v[82:83], v[90:91] neg_lo:[0,1] neg_hi:[0,1]
	v_pk_fma_f32 v[44:45], v[92:93], 0.5, v[44:45] op_sel_hi:[1,0,1] neg_lo:[1,0,0] neg_hi:[1,0,0]
	v_pk_add_f32 v[72:73], v[72:73], v[82:83]
	v_pk_mul_f32 v[82:83], v[94:95], s[6:7] op_sel_hi:[1,0]
	v_pk_add_f32 v[102:103], v[102:103], v[90:91]
	v_pk_add_f32 v[90:91], v[44:45], v[82:83] op_sel:[0,1] op_sel_hi:[1,0] neg_lo:[0,1] neg_hi:[0,1]
	v_pk_add_f32 v[44:45], v[44:45], v[82:83] op_sel:[0,1] op_sel_hi:[1,0]
	v_pk_mul_f32 v[82:83], v[88:89], s[12:13] op_sel_hi:[1,0]
	v_mov_b32_e32 v177, v81
	v_pk_add_f32 v[44:45], v[44:45], v[82:83] op_sel:[0,1] op_sel_hi:[1,0] neg_lo:[0,1] neg_hi:[0,1]
	v_pk_add_f32 v[82:83], v[90:91], v[82:83] op_sel:[0,1] op_sel_hi:[1,0]
	v_mov_b32_e32 v81, v99
	v_pk_fma_f32 v[176:177], v[40:41], s[8:9], v[176:177] op_sel_hi:[1,0,1]
	v_mov_b32_e32 v88, v82
	v_mov_b32_e32 v89, v45
	;; [unrolled: 1-line block ×3, first 2 shown]
	v_pk_fma_f32 v[40:41], v[40:41], s[8:9], v[80:81] op_sel_hi:[1,0,1]
	v_pk_fma_f32 v[82:83], v[72:73], s[8:9], v[88:89] op_sel_hi:[1,0,1]
	;; [unrolled: 1-line block ×3, first 2 shown]
	v_mov_b32_e32 v57, v59
	v_mov_b32_e32 v69, v71
	;; [unrolled: 1-line block ×4, first 2 shown]
	ds_write_b64 v19, v[40:41] offset:288
	v_mad_legacy_u16 v40, v97, 45, v101
	ds_write2_b64 v19, v[102:103], v[176:177] offset1:9
	ds_write2_b64 v19, v[82:83], v[44:45] offset0:18 offset1:27
	v_pk_add_f32 v[44:45], v[56:57], v[68:69] neg_lo:[0,1] neg_hi:[0,1]
	v_pk_add_f32 v[58:59], v[84:85], v[64:65] neg_lo:[0,1] neg_hi:[0,1]
	v_lshlrev_b32_e32 v177, 3, v40
	v_pk_add_f32 v[40:41], v[68:69], v[64:65]
	v_pk_add_f32 v[44:45], v[44:45], v[58:59]
	v_pk_fma_f32 v[40:41], v[40:41], 0.5, v[46:47] op_sel_hi:[1,0,1] neg_lo:[1,0,0] neg_hi:[1,0,0]
	v_pk_add_f32 v[58:59], v[56:57], v[84:85] neg_lo:[0,1] neg_hi:[0,1]
	v_pk_add_f32 v[70:71], v[68:69], v[64:65] neg_lo:[0,1] neg_hi:[0,1]
	v_pk_fma_f32 v[66:67], v[58:59], s[6:7], v[40:41] op_sel:[1,0,0] op_sel_hi:[0,0,1] neg_lo:[1,0,0] neg_hi:[1,0,0]
	v_pk_fma_f32 v[40:41], v[58:59], s[6:7], v[40:41] op_sel:[1,0,0] op_sel_hi:[0,0,1]
	v_pk_add_f32 v[72:73], v[46:47], v[56:57]
	v_pk_fma_f32 v[40:41], v[70:71], s[12:13], v[40:41] op_sel:[1,0,0] op_sel_hi:[0,0,1]
	v_pk_fma_f32 v[66:67], v[70:71], s[12:13], v[66:67] op_sel:[1,0,0] op_sel_hi:[0,0,1] neg_lo:[1,0,0] neg_hi:[1,0,0]
	v_pk_add_f32 v[72:73], v[72:73], v[68:69]
	v_mov_b32_e32 v81, v41
	v_pk_add_f32 v[72:73], v[72:73], v[64:65]
	v_mov_b32_e32 v41, v67
	v_pk_add_f32 v[72:73], v[72:73], v[84:85]
	v_pk_fma_f32 v[40:41], v[44:45], s[8:9], v[40:41] op_sel_hi:[1,0,1]
	ds_write2_b64 v177, v[72:73], v[40:41] offset1:9
	v_pk_add_f32 v[40:41], v[56:57], v[84:85]
	v_mov_b32_e32 v186, v39
	v_pk_fma_f32 v[40:41], v[40:41], 0.5, v[46:47] op_sel_hi:[1,0,1] neg_lo:[1,0,0] neg_hi:[1,0,0]
	v_pk_add_f32 v[46:47], v[68:69], v[56:57] neg_lo:[0,1] neg_hi:[0,1]
	v_pk_add_f32 v[56:57], v[64:65], v[84:85] neg_lo:[0,1] neg_hi:[0,1]
	v_mov_b32_e32 v80, v66
	v_pk_add_f32 v[46:47], v[46:47], v[56:57]
	v_pk_fma_f32 v[56:57], v[70:71], s[6:7], v[40:41] op_sel:[1,0,0] op_sel_hi:[0,0,1]
	v_pk_fma_f32 v[40:41], v[70:71], s[6:7], v[40:41] op_sel:[1,0,0] op_sel_hi:[0,0,1] neg_lo:[1,0,0] neg_hi:[1,0,0]
	v_pk_fma_f32 v[40:41], v[58:59], s[12:13], v[40:41] op_sel:[1,0,0] op_sel_hi:[0,0,1]
	v_pk_fma_f32 v[56:57], v[58:59], s[12:13], v[56:57] op_sel:[1,0,0] op_sel_hi:[0,0,1] neg_lo:[1,0,0] neg_hi:[1,0,0]
	v_mov_b32_e32 v58, v56
	v_mov_b32_e32 v59, v41
	;; [unrolled: 1-line block ×3, first 2 shown]
	v_pk_fma_f32 v[56:57], v[46:47], s[8:9], v[58:59] op_sel_hi:[1,0,1]
	v_pk_fma_f32 v[40:41], v[46:47], s[8:9], v[40:41] op_sel_hi:[1,0,1]
	ds_write2_b64 v177, v[40:41], v[56:57] offset0:18 offset1:27
	v_pk_mul_f32 v[40:41], v[106:107], v[186:187] op_sel_hi:[1,0]
	v_pk_fma_f32 v[44:45], v[44:45], s[8:9], v[80:81] op_sel_hi:[1,0,1]
	v_pk_fma_f32 v[46:47], v[106:107], v[38:39], v[40:41] op_sel:[0,0,1] op_sel_hi:[1,1,0] neg_lo:[0,0,1] neg_hi:[0,0,1]
	v_pk_fma_f32 v[40:41], v[106:107], v[38:39], v[40:41] op_sel:[0,0,1] op_sel_hi:[1,0,0]
	v_mov_b32_e32 v55, v53
	v_mov_b32_e32 v75, v79
	;; [unrolled: 1-line block ×4, first 2 shown]
	ds_write_b64 v177, v[44:45] offset:288
	v_mad_legacy_u16 v44, v105, 45, v170
	v_pk_add_f32 v[40:41], v[54:55], v[74:75] neg_lo:[0,1] neg_hi:[0,1]
	v_pk_add_f32 v[52:53], v[46:47], v[60:61] neg_lo:[0,1] neg_hi:[0,1]
	v_lshlrev_b32_e32 v179, 3, v44
	v_pk_add_f32 v[44:45], v[74:75], v[60:61]
	v_pk_add_f32 v[40:41], v[40:41], v[52:53]
	v_pk_fma_f32 v[44:45], v[44:45], 0.5, v[42:43] op_sel_hi:[1,0,1] neg_lo:[1,0,0] neg_hi:[1,0,0]
	v_pk_add_f32 v[52:53], v[54:55], v[46:47] neg_lo:[0,1] neg_hi:[0,1]
	v_pk_add_f32 v[58:59], v[74:75], v[60:61] neg_lo:[0,1] neg_hi:[0,1]
	v_pk_fma_f32 v[56:57], v[52:53], s[6:7], v[44:45] op_sel:[1,0,0] op_sel_hi:[0,0,1] neg_lo:[1,0,0] neg_hi:[1,0,0]
	v_pk_fma_f32 v[44:45], v[52:53], s[6:7], v[44:45] op_sel:[1,0,0] op_sel_hi:[0,0,1]
	v_pk_add_f32 v[62:63], v[42:43], v[54:55]
	v_pk_fma_f32 v[44:45], v[58:59], s[12:13], v[44:45] op_sel:[1,0,0] op_sel_hi:[0,0,1]
	v_pk_fma_f32 v[56:57], v[58:59], s[12:13], v[56:57] op_sel:[1,0,0] op_sel_hi:[0,0,1] neg_lo:[1,0,0] neg_hi:[1,0,0]
	v_pk_add_f32 v[62:63], v[62:63], v[74:75]
	v_mov_b32_e32 v65, v45
	v_pk_add_f32 v[62:63], v[62:63], v[60:61]
	v_mov_b32_e32 v45, v57
	v_pk_add_f32 v[62:63], v[62:63], v[46:47]
	v_pk_fma_f32 v[44:45], v[40:41], s[8:9], v[44:45] op_sel_hi:[1,0,1]
	ds_write2_b64 v179, v[62:63], v[44:45] offset1:9
	v_pk_add_f32 v[44:45], v[54:55], v[46:47]
	v_pk_add_f32 v[46:47], v[60:61], v[46:47] neg_lo:[0,1] neg_hi:[0,1]
	v_pk_fma_f32 v[42:43], v[44:45], 0.5, v[42:43] op_sel_hi:[1,0,1] neg_lo:[1,0,0] neg_hi:[1,0,0]
	v_pk_add_f32 v[44:45], v[74:75], v[54:55] neg_lo:[0,1] neg_hi:[0,1]
	v_mov_b32_e32 v64, v56
	v_pk_add_f32 v[44:45], v[44:45], v[46:47]
	v_pk_fma_f32 v[46:47], v[58:59], s[6:7], v[42:43] op_sel:[1,0,0] op_sel_hi:[0,0,1]
	v_pk_fma_f32 v[42:43], v[58:59], s[6:7], v[42:43] op_sel:[1,0,0] op_sel_hi:[0,0,1] neg_lo:[1,0,0] neg_hi:[1,0,0]
	v_pk_fma_f32 v[40:41], v[40:41], s[8:9], v[64:65] op_sel_hi:[1,0,1]
	s_movk_i32 s7, 0x2d83
	ds_write_b64 v179, v[40:41] offset:288
	v_mul_u32_u24_sdwa v40, v96, s7 dst_sel:DWORD dst_unused:UNUSED_PAD src0_sel:WORD_0 src1_sel:DWORD
	v_lshrrev_b32_e32 v97, 19, v40
	v_mul_lo_u16_e32 v40, 45, v97
	v_pk_fma_f32 v[42:43], v[52:53], s[12:13], v[42:43] op_sel:[1,0,0] op_sel_hi:[0,0,1]
	v_pk_fma_f32 v[46:47], v[52:53], s[12:13], v[46:47] op_sel:[1,0,0] op_sel_hi:[0,0,1] neg_lo:[1,0,0] neg_hi:[1,0,0]
	v_sub_u16_e32 v101, v96, v40
	v_mov_b32_e32 v52, v46
	v_mov_b32_e32 v53, v43
	v_lshlrev_b16_e32 v40, 5, v101
	v_mov_b32_e32 v41, v109
	v_mov_b32_e32 v43, v47
	v_pk_fma_f32 v[46:47], v[44:45], s[8:9], v[52:53] op_sel_hi:[1,0,1]
	v_lshl_add_u64 v[52:53], s[10:11], 0, v[40:41]
	v_mul_u32_u24_sdwa v40, v76, s7 dst_sel:DWORD dst_unused:UNUSED_PAD src0_sel:WORD_0 src1_sel:DWORD
	v_lshrrev_b32_e32 v105, 19, v40
	v_pk_fma_f32 v[42:43], v[44:45], s[8:9], v[42:43] op_sel_hi:[1,0,1]
	v_mul_lo_u16_e32 v40, 45, v105
	ds_write2_b64 v179, v[42:43], v[46:47] offset0:18 offset1:27
	s_waitcnt lgkmcnt(0)
	s_barrier
	v_sub_u16_e32 v187, v76, v40
	global_load_dwordx4 v[44:47], v[52:53], off offset:336
	v_lshlrev_b16_e32 v40, 5, v187
	v_lshl_add_u64 v[54:55], s[10:11], 0, v[40:41]
	s_movk_i32 s7, 0x6d
	global_load_dwordx4 v[40:43], v[54:55], off offset:336
	global_load_dwordx4 v[60:63], v[52:53], off offset:352
	;; [unrolled: 1-line block ×3, first 2 shown]
	v_mul_lo_u16_sdwa v52, v112, s7 dst_sel:DWORD dst_unused:UNUSED_PAD src0_sel:BYTE_0 src1_sel:DWORD
	v_sub_u16_sdwa v53, v112, v52 dst_sel:DWORD dst_unused:UNUSED_PAD src0_sel:DWORD src1_sel:BYTE_1
	v_lshrrev_b16_e32 v53, 1, v53
	v_and_b32_e32 v53, 0x7f, v53
	v_add_u16_sdwa v52, v53, v52 dst_sel:DWORD dst_unused:UNUSED_PAD src0_sel:DWORD src1_sel:BYTE_1
	v_lshrrev_b16_e32 v204, 5, v52
	v_mul_lo_u16_e32 v52, 45, v204
	v_sub_u16_e32 v52, v112, v52
	v_and_b32_e32 v205, 0xff, v52
	v_lshlrev_b32_e32 v64, 5, v205
	global_load_dwordx4 v[52:55], v64, s[10:11] offset:336
	s_nop 0
	global_load_dwordx4 v[64:67], v64, s[10:11] offset:352
	ds_read2_b64 v[68:71], v165 offset0:28 offset1:163
	ds_read2_b64 v[72:75], v161 offset0:70 offset1:205
	v_lshlrev_b32_e32 v96, 4, v96
	s_waitcnt vmcnt(5) lgkmcnt(1)
	v_pk_mul_f32 v[78:79], v[70:71], v[44:45] op_sel:[0,1]
	s_nop 0
	v_pk_fma_f32 v[80:81], v[70:71], v[44:45], v[78:79] op_sel:[0,0,1] op_sel_hi:[1,1,0] neg_lo:[0,0,1] neg_hi:[0,0,1]
	v_pk_fma_f32 v[78:79], v[70:71], v[44:45], v[78:79] op_sel:[0,0,1] op_sel_hi:[1,0,0]
	s_waitcnt vmcnt(4)
	v_pk_mul_f32 v[70:71], v[68:69], v[40:41] op_sel:[0,1]
	v_mov_b32_e32 v172, v43
	v_pk_fma_f32 v[82:83], v[68:69], v[40:41], v[70:71] op_sel:[0,0,1] op_sel_hi:[1,1,0] neg_lo:[0,0,1] neg_hi:[0,0,1]
	v_pk_fma_f32 v[84:85], v[68:69], v[40:41], v[70:71] op_sel:[0,0,1] op_sel_hi:[1,0,0]
	s_waitcnt vmcnt(3) lgkmcnt(0)
	v_pk_mul_f32 v[68:69], v[74:75], v[60:61] op_sel:[0,1]
	v_mov_b32_e32 v174, v47
	v_pk_fma_f32 v[86:87], v[74:75], v[60:61], v[68:69] op_sel:[0,0,1] op_sel_hi:[1,1,0] neg_lo:[0,0,1] neg_hi:[0,0,1]
	v_pk_fma_f32 v[88:89], v[74:75], v[60:61], v[68:69] op_sel:[0,0,1] op_sel_hi:[1,0,0]
	ds_read2_b64 v[68:71], v155 offset0:42 offset1:177
	s_waitcnt vmcnt(2)
	v_pk_mul_f32 v[74:75], v[72:73], v[56:57] op_sel:[0,1]
	v_mov_b32_e32 v178, v59
	v_pk_fma_f32 v[90:91], v[72:73], v[56:57], v[74:75] op_sel:[0,0,1] op_sel_hi:[1,1,0] neg_lo:[0,0,1] neg_hi:[0,0,1]
	v_pk_fma_f32 v[92:93], v[72:73], v[56:57], v[74:75] op_sel:[0,0,1] op_sel_hi:[1,0,0]
	s_waitcnt lgkmcnt(0)
	v_pk_mul_f32 v[72:73], v[70:71], v[172:173] op_sel_hi:[1,0]
	s_waitcnt vmcnt(1)
	v_mov_b32_e32 v170, v55
	v_pk_fma_f32 v[94:95], v[70:71], v[42:43], v[72:73] op_sel:[0,0,1] op_sel_hi:[1,1,0] neg_lo:[0,0,1] neg_hi:[0,0,1]
	v_pk_fma_f32 v[98:99], v[70:71], v[42:43], v[72:73] op_sel:[0,0,1] op_sel_hi:[1,0,0]
	ds_read2_b64 v[70:73], v151 offset0:56 offset1:191
	v_pk_mul_f32 v[74:75], v[68:69], v[170:171] op_sel_hi:[1,0]
	s_waitcnt vmcnt(0)
	v_mov_b32_e32 v176, v67
	v_pk_fma_f32 v[102:103], v[68:69], v[54:55], v[74:75] op_sel:[0,0,1] op_sel_hi:[1,1,0] neg_lo:[0,0,1] neg_hi:[0,0,1]
	v_pk_fma_f32 v[74:75], v[68:69], v[54:55], v[74:75] op_sel:[0,0,1] op_sel_hi:[1,0,0]
	s_waitcnt lgkmcnt(0)
	v_pk_mul_f32 v[68:69], v[70:71], v[174:175] op_sel_hi:[1,0]
	v_pk_mul_f32 v[182:183], v[72:73], v[64:65] op_sel:[0,1]
	v_pk_fma_f32 v[106:107], v[70:71], v[46:47], v[68:69] op_sel:[0,0,1] op_sel_hi:[1,1,0] neg_lo:[0,0,1] neg_hi:[0,0,1]
	v_pk_fma_f32 v[180:181], v[70:71], v[46:47], v[68:69] op_sel:[0,0,1] op_sel_hi:[1,0,0]
	ds_read2_b64 v[68:71], v159 offset0:84 offset1:219
	v_pk_fma_f32 v[184:185], v[72:73], v[64:65], v[182:183] op_sel:[0,0,1] op_sel_hi:[1,1,0] neg_lo:[0,0,1] neg_hi:[0,0,1]
	v_pk_fma_f32 v[182:183], v[72:73], v[64:65], v[182:183] op_sel:[0,0,1] op_sel_hi:[1,0,0]
	v_mov_b32_e32 v103, v75
	v_mov_b32_e32 v185, v183
	s_waitcnt lgkmcnt(0)
	v_pk_mul_f32 v[72:73], v[70:71], v[178:179] op_sel_hi:[1,0]
	v_pk_mul_f32 v[192:193], v[68:69], v[176:177] op_sel_hi:[1,0]
	v_pk_fma_f32 v[188:189], v[70:71], v[58:59], v[72:73] op_sel:[0,0,1] op_sel_hi:[1,1,0] neg_lo:[0,0,1] neg_hi:[0,0,1]
	v_pk_fma_f32 v[190:191], v[70:71], v[58:59], v[72:73] op_sel:[0,0,1] op_sel_hi:[1,0,0]
	ds_read2_b64 v[70:73], v153 offset0:14 offset1:149
	v_pk_fma_f32 v[194:195], v[68:69], v[66:67], v[192:193] op_sel:[0,0,1] op_sel_hi:[1,1,0] neg_lo:[0,0,1] neg_hi:[0,0,1]
	v_pk_fma_f32 v[68:69], v[68:69], v[66:67], v[192:193] op_sel:[0,0,1] op_sel_hi:[1,0,0]
	v_mul_u32_u24_e32 v43, 0xe1, v204
	v_mov_b32_e32 v195, v69
	s_waitcnt lgkmcnt(0)
	v_pk_mul_f32 v[192:193], v[72:73], v[52:53] op_sel:[0,1]
	v_pk_add_f32 v[182:183], v[194:195], v[184:185] neg_lo:[0,1] neg_hi:[0,1]
	v_pk_fma_f32 v[196:197], v[72:73], v[52:53], v[192:193] op_sel:[0,0,1] op_sel_hi:[1,1,0] neg_lo:[0,0,1] neg_hi:[0,0,1]
	v_pk_fma_f32 v[72:73], v[72:73], v[52:53], v[192:193] op_sel:[0,0,1] op_sel_hi:[1,0,0]
	v_add_lshl_u32 v43, v43, v205, 3
	v_mov_b32_e32 v197, v73
	ds_read2_b64 v[72:75], v108 offset1:135
	v_pk_add_f32 v[68:69], v[196:197], v[102:103] neg_lo:[0,1] neg_hi:[0,1]
	v_pk_add_f32 v[192:193], v[196:197], v[194:195] neg_lo:[0,1] neg_hi:[0,1]
	v_pk_add_f32 v[68:69], v[68:69], v[182:183]
	v_pk_add_f32 v[182:183], v[102:103], v[184:185]
	v_pk_mul_f32 v[198:199], v[192:193], s[6:7] op_sel_hi:[1,0]
	s_waitcnt lgkmcnt(0)
	v_pk_fma_f32 v[182:183], v[182:183], 0.5, v[72:73] op_sel_hi:[1,0,1] neg_lo:[1,0,0] neg_hi:[1,0,0]
	v_mov_b32_e32 v83, v85
	v_pk_add_f32 v[200:201], v[182:183], v[198:199] op_sel:[0,1] op_sel_hi:[1,0]
	v_pk_add_f32 v[182:183], v[182:183], v[198:199] op_sel:[0,1] op_sel_hi:[1,0] neg_lo:[0,1] neg_hi:[0,1]
	v_pk_add_f32 v[198:199], v[102:103], v[184:185] neg_lo:[0,1] neg_hi:[0,1]
	v_mov_b32_e32 v95, v99
	v_pk_mul_f32 v[202:203], v[198:199], s[12:13] op_sel_hi:[1,0]
	v_mov_b32_e32 v91, v93
	v_pk_add_f32 v[182:183], v[182:183], v[202:203] op_sel:[0,1] op_sel_hi:[1,0] neg_lo:[0,1] neg_hi:[0,1]
	v_pk_add_f32 v[200:201], v[200:201], v[202:203] op_sel:[0,1] op_sel_hi:[1,0]
	v_pk_add_f32 v[202:203], v[72:73], v[196:197]
	v_mov_b32_e32 v206, v200
	v_pk_add_f32 v[202:203], v[202:203], v[102:103]
	v_pk_add_f32 v[102:103], v[102:103], v[196:197] neg_lo:[0,1] neg_hi:[0,1]
	v_pk_add_f32 v[202:203], v[202:203], v[184:185]
	v_pk_add_f32 v[196:197], v[196:197], v[194:195]
	v_pk_add_f32 v[184:185], v[184:185], v[194:195] neg_lo:[0,1] neg_hi:[0,1]
	v_pk_fma_f32 v[72:73], v[196:197], 0.5, v[72:73] op_sel_hi:[1,0,1] neg_lo:[1,0,0] neg_hi:[1,0,0]
	v_pk_add_f32 v[102:103], v[102:103], v[184:185]
	v_pk_mul_f32 v[184:185], v[198:199], s[6:7] op_sel_hi:[1,0]
	v_pk_add_f32 v[202:203], v[202:203], v[194:195]
	v_pk_add_f32 v[194:195], v[72:73], v[184:185] op_sel:[0,1] op_sel_hi:[1,0] neg_lo:[0,1] neg_hi:[0,1]
	v_pk_add_f32 v[72:73], v[72:73], v[184:185] op_sel:[0,1] op_sel_hi:[1,0]
	v_pk_mul_f32 v[184:185], v[192:193], s[12:13] op_sel_hi:[1,0]
	v_mov_b32_e32 v207, v183
	v_pk_add_f32 v[72:73], v[72:73], v[184:185] op_sel:[0,1] op_sel_hi:[1,0] neg_lo:[0,1] neg_hi:[0,1]
	v_pk_add_f32 v[184:185], v[194:195], v[184:185] op_sel:[0,1] op_sel_hi:[1,0]
	v_mov_b32_e32 v193, v73
	v_mov_b32_e32 v192, v184
	;; [unrolled: 1-line block ×4, first 2 shown]
	v_pk_fma_f32 v[206:207], v[68:69], s[8:9], v[206:207] op_sel_hi:[1,0,1]
	v_pk_fma_f32 v[184:185], v[102:103], s[8:9], v[192:193] op_sel_hi:[1,0,1]
	;; [unrolled: 1-line block ×3, first 2 shown]
	v_mov_b32_e32 v189, v191
	v_pk_fma_f32 v[68:69], v[68:69], s[8:9], v[182:183] op_sel_hi:[1,0,1]
	ds_read_b64 v[204:205], v108 offset:15120
	s_waitcnt lgkmcnt(0)
	s_barrier
	ds_write2_b64 v43, v[184:185], v[72:73] offset0:90 offset1:135
	v_pk_add_f32 v[72:73], v[82:83], v[94:95] neg_lo:[0,1] neg_hi:[0,1]
	v_pk_add_f32 v[84:85], v[188:189], v[90:91] neg_lo:[0,1] neg_hi:[0,1]
	ds_write_b64 v43, v[68:69] offset:1440
	v_pk_add_f32 v[68:69], v[94:95], v[90:91]
	v_pk_add_f32 v[72:73], v[72:73], v[84:85]
	s_movk_i32 s7, 0xe1
	v_pk_fma_f32 v[68:69], v[68:69], 0.5, v[74:75] op_sel_hi:[1,0,1] neg_lo:[1,0,0] neg_hi:[1,0,0]
	v_pk_add_f32 v[84:85], v[82:83], v[188:189] neg_lo:[0,1] neg_hi:[0,1]
	v_pk_add_f32 v[98:99], v[94:95], v[90:91] neg_lo:[0,1] neg_hi:[0,1]
	v_pk_fma_f32 v[92:93], v[84:85], s[6:7], v[68:69] op_sel:[1,0,0] op_sel_hi:[0,0,1] neg_lo:[1,0,0] neg_hi:[1,0,0]
	v_pk_fma_f32 v[68:69], v[84:85], s[6:7], v[68:69] op_sel:[1,0,0] op_sel_hi:[0,0,1]
	v_pk_add_f32 v[102:103], v[74:75], v[82:83]
	v_pk_fma_f32 v[68:69], v[98:99], s[12:13], v[68:69] op_sel:[1,0,0] op_sel_hi:[0,0,1]
	v_pk_fma_f32 v[92:93], v[98:99], s[12:13], v[92:93] op_sel:[1,0,0] op_sel_hi:[0,0,1] neg_lo:[1,0,0] neg_hi:[1,0,0]
	v_pk_add_f32 v[102:103], v[102:103], v[94:95]
	v_mad_legacy_u16 v47, v105, s7, v187
	v_pk_add_f32 v[102:103], v[102:103], v[90:91]
	v_mov_b32_e32 v183, v69
	v_mov_b32_e32 v69, v93
	v_lshlrev_b32_e32 v47, 3, v47
	v_pk_add_f32 v[102:103], v[102:103], v[188:189]
	v_pk_fma_f32 v[68:69], v[72:73], s[8:9], v[68:69] op_sel_hi:[1,0,1]
	ds_write2_b64 v43, v[202:203], v[206:207] offset1:45
	ds_write2_b64 v47, v[102:103], v[68:69] offset1:45
	v_pk_add_f32 v[68:69], v[82:83], v[188:189]
	v_mov_b32_e32 v198, v63
	v_pk_fma_f32 v[68:69], v[68:69], 0.5, v[74:75] op_sel_hi:[1,0,1] neg_lo:[1,0,0] neg_hi:[1,0,0]
	v_pk_add_f32 v[74:75], v[94:95], v[82:83] neg_lo:[0,1] neg_hi:[0,1]
	v_pk_add_f32 v[82:83], v[90:91], v[188:189] neg_lo:[0,1] neg_hi:[0,1]
	v_mov_b32_e32 v182, v92
	v_pk_add_f32 v[74:75], v[74:75], v[82:83]
	v_pk_fma_f32 v[82:83], v[98:99], s[6:7], v[68:69] op_sel:[1,0,0] op_sel_hi:[0,0,1]
	v_pk_fma_f32 v[68:69], v[98:99], s[6:7], v[68:69] op_sel:[1,0,0] op_sel_hi:[0,0,1] neg_lo:[1,0,0] neg_hi:[1,0,0]
	v_pk_fma_f32 v[68:69], v[84:85], s[12:13], v[68:69] op_sel:[1,0,0] op_sel_hi:[0,0,1]
	v_pk_fma_f32 v[82:83], v[84:85], s[12:13], v[82:83] op_sel:[1,0,0] op_sel_hi:[0,0,1] neg_lo:[1,0,0] neg_hi:[1,0,0]
	v_mov_b32_e32 v84, v82
	v_mov_b32_e32 v85, v69
	;; [unrolled: 1-line block ×3, first 2 shown]
	v_pk_fma_f32 v[82:83], v[74:75], s[8:9], v[84:85] op_sel_hi:[1,0,1]
	v_pk_fma_f32 v[68:69], v[74:75], s[8:9], v[68:69] op_sel_hi:[1,0,1]
	ds_write2_b64 v47, v[68:69], v[82:83] offset0:90 offset1:135
	v_pk_mul_f32 v[68:69], v[204:205], v[198:199] op_sel_hi:[1,0]
	v_mov_b32_e32 v81, v79
	v_pk_fma_f32 v[74:75], v[204:205], v[62:63], v[68:69] op_sel:[0,0,1] op_sel_hi:[1,1,0] neg_lo:[0,0,1] neg_hi:[0,0,1]
	v_pk_fma_f32 v[68:69], v[204:205], v[62:63], v[68:69] op_sel:[0,0,1] op_sel_hi:[1,0,0]
	v_mov_b32_e32 v107, v181
	v_mov_b32_e32 v87, v89
	v_mov_b32_e32 v75, v69
	v_pk_fma_f32 v[72:73], v[72:73], s[8:9], v[182:183] op_sel_hi:[1,0,1]
	v_pk_add_f32 v[68:69], v[80:81], v[106:107] neg_lo:[0,1] neg_hi:[0,1]
	v_pk_add_f32 v[78:79], v[74:75], v[86:87] neg_lo:[0,1] neg_hi:[0,1]
	ds_write_b64 v47, v[72:73] offset:1440
	v_pk_add_f32 v[72:73], v[106:107], v[86:87]
	v_pk_add_f32 v[68:69], v[68:69], v[78:79]
	v_pk_fma_f32 v[72:73], v[72:73], 0.5, v[70:71] op_sel_hi:[1,0,1] neg_lo:[1,0,0] neg_hi:[1,0,0]
	v_pk_add_f32 v[78:79], v[80:81], v[74:75] neg_lo:[0,1] neg_hi:[0,1]
	v_pk_add_f32 v[84:85], v[106:107], v[86:87] neg_lo:[0,1] neg_hi:[0,1]
	v_pk_fma_f32 v[82:83], v[78:79], s[6:7], v[72:73] op_sel:[1,0,0] op_sel_hi:[0,0,1] neg_lo:[1,0,0] neg_hi:[1,0,0]
	v_pk_fma_f32 v[72:73], v[78:79], s[6:7], v[72:73] op_sel:[1,0,0] op_sel_hi:[0,0,1]
	v_pk_add_f32 v[88:89], v[70:71], v[80:81]
	v_pk_fma_f32 v[72:73], v[84:85], s[12:13], v[72:73] op_sel:[1,0,0] op_sel_hi:[0,0,1]
	v_pk_fma_f32 v[82:83], v[84:85], s[12:13], v[82:83] op_sel:[1,0,0] op_sel_hi:[0,0,1] neg_lo:[1,0,0] neg_hi:[1,0,0]
	v_pk_add_f32 v[88:89], v[88:89], v[106:107]
	v_mad_legacy_u16 v55, v97, s7, v101
	v_pk_add_f32 v[88:89], v[88:89], v[86:87]
	v_mov_b32_e32 v91, v73
	v_mov_b32_e32 v73, v83
	v_lshlrev_b32_e32 v55, 3, v55
	v_pk_add_f32 v[88:89], v[88:89], v[74:75]
	v_pk_fma_f32 v[72:73], v[68:69], s[8:9], v[72:73] op_sel_hi:[1,0,1]
	ds_write2_b64 v55, v[88:89], v[72:73] offset1:45
	v_pk_add_f32 v[72:73], v[80:81], v[74:75]
	v_pk_add_f32 v[74:75], v[86:87], v[74:75] neg_lo:[0,1] neg_hi:[0,1]
	v_pk_fma_f32 v[70:71], v[72:73], 0.5, v[70:71] op_sel_hi:[1,0,1] neg_lo:[1,0,0] neg_hi:[1,0,0]
	v_pk_add_f32 v[72:73], v[106:107], v[80:81] neg_lo:[0,1] neg_hi:[0,1]
	v_mov_b32_e32 v90, v82
	v_pk_add_f32 v[72:73], v[72:73], v[74:75]
	v_pk_fma_f32 v[74:75], v[84:85], s[6:7], v[70:71] op_sel:[1,0,0] op_sel_hi:[0,0,1]
	v_pk_fma_f32 v[70:71], v[84:85], s[6:7], v[70:71] op_sel:[1,0,0] op_sel_hi:[0,0,1] neg_lo:[1,0,0] neg_hi:[1,0,0]
	s_mov_b32 s7, 0x91a3
	v_mul_u32_u24_sdwa v59, v100, s7 dst_sel:DWORD dst_unused:UNUSED_PAD src0_sel:WORD_0 src1_sel:DWORD
	v_pk_fma_f32 v[70:71], v[78:79], s[12:13], v[70:71] op_sel:[1,0,0] op_sel_hi:[0,0,1]
	v_pk_fma_f32 v[74:75], v[78:79], s[12:13], v[74:75] op_sel:[1,0,0] op_sel_hi:[0,0,1] neg_lo:[1,0,0] neg_hi:[1,0,0]
	v_lshrrev_b32_e32 v63, 23, v59
	v_mov_b32_e32 v78, v74
	v_mov_b32_e32 v79, v71
	v_mul_lo_u16_e32 v59, 0xe1, v63
	v_mov_b32_e32 v71, v75
	v_pk_fma_f32 v[74:75], v[72:73], s[8:9], v[78:79] op_sel_hi:[1,0,1]
	v_sub_u16_e32 v79, v100, v59
	v_mul_u32_u24_sdwa v59, v104, s7 dst_sel:DWORD dst_unused:UNUSED_PAD src0_sel:WORD_0 src1_sel:DWORD
	v_lshrrev_b32_e32 v59, 23, v59
	v_mul_lo_u16_e32 v59, 0xe1, v59
	v_pk_fma_f32 v[68:69], v[68:69], s[8:9], v[90:91] op_sel_hi:[1,0,1]
	v_sub_u16_e32 v97, v104, v59
	ds_write_b64 v55, v[68:69] offset:1440
	v_lshlrev_b16_e32 v68, 4, v97
	v_mov_b32_e32 v69, v109
	v_pk_fma_f32 v[70:71], v[72:73], s[8:9], v[70:71] op_sel_hi:[1,0,1]
	v_lshl_add_u64 v[68:69], s[10:11], 0, v[68:69]
	v_lshlrev_b16_e32 v72, 4, v79
	v_mov_b32_e32 v73, v109
	ds_write2_b64 v55, v[70:71], v[74:75] offset0:90 offset1:135
	s_waitcnt lgkmcnt(0)
	s_barrier
	global_load_dwordx4 v[68:71], v[68:69], off offset:1776
	v_lshl_add_u64 v[72:73], s[10:11], 0, v[72:73]
	global_load_dwordx4 v[72:75], v[72:73], off offset:1776
	v_lshlrev_b32_e32 v78, 4, v112
	global_load_dwordx4 v[80:83], v78, s[10:11] offset:2496
	s_movk_i32 s7, 0x5a
	v_lshl_add_u64 v[84:85], v[112:113], 0, s[14:15]
	v_cmp_gt_u16_e32 vcc, s7, v112
	s_movk_i32 s7, 0x59
	v_mov_b32_e32 v59, 0x2a3
	v_cndmask_b32_e32 v99, v85, v77, vcc
	v_cndmask_b32_e32 v98, v84, v76, vcc
	v_lshl_add_u64 v[84:85], v[98:99], 4, s[10:11]
	global_load_dwordx4 v[84:87], v[84:85], off offset:1776
	s_nop 0
	global_load_dwordx4 v[88:91], v78, s[10:11] offset:1776
	ds_read2_b64 v[92:95], v151 offset0:56 offset1:191
	ds_read2_b64 v[180:183], v159 offset0:84 offset1:219
	v_cmp_lt_u16_e32 vcc, s7, v112
	v_add_u32_e32 v67, 0x1600, v108
	s_movk_i32 s7, 0x2a3
	v_cndmask_b32_e32 v59, 0, v59, vcc
	v_add_lshl_u32 v59, v98, v59, 3
	v_mad_legacy_u16 v63, v63, s7, v79
	v_lshlrev_b32_e32 v63, 3, v63
	v_mov_b32_e32 v79, v109
	v_lshl_add_u64 v[78:79], s[10:11], 0, v[78:79]
	v_add_co_u32_e32 v78, vcc, s3, v78
	v_lshlrev_b32_e32 v76, 4, v76
	s_nop 0
	v_addc_co_u32_e32 v79, vcc, 0, v79, vcc
	v_mov_b32_e32 v77, v109
	v_lshlrev_b32_e32 v100, 4, v100
	v_mov_b32_e32 v101, v109
	v_lshl_add_u64 v[100:101], s[10:11], 0, v[100:101]
	v_lshlrev_b32_e32 v104, 4, v104
	v_mov_b32_e32 v105, v109
	v_lshl_add_u64 v[104:105], s[10:11], 0, v[104:105]
	s_waitcnt vmcnt(4) lgkmcnt(1)
	v_pk_mul_f32 v[102:103], v[94:95], v[68:69] op_sel:[0,1]
	s_nop 0
	v_pk_fma_f32 v[106:107], v[94:95], v[68:69], v[102:103] op_sel:[0,0,1] op_sel_hi:[1,1,0] neg_lo:[0,0,1] neg_hi:[0,0,1]
	v_pk_fma_f32 v[102:103], v[94:95], v[68:69], v[102:103] op_sel:[0,0,1] op_sel_hi:[1,0,0]
	s_waitcnt vmcnt(3)
	v_pk_mul_f32 v[94:95], v[92:93], v[72:73] op_sel:[0,1]
	v_mov_b32_e32 v188, v75
	v_pk_fma_f32 v[200:201], v[92:93], v[72:73], v[94:95] op_sel:[0,0,1] op_sel_hi:[1,1,0] neg_lo:[0,0,1] neg_hi:[0,0,1]
	v_pk_fma_f32 v[184:185], v[92:93], v[72:73], v[94:95] op_sel:[0,0,1] op_sel_hi:[1,0,0]
	s_waitcnt lgkmcnt(0)
	v_pk_mul_f32 v[92:93], v[182:183], v[188:189] op_sel_hi:[1,0]
	s_waitcnt vmcnt(2)
	v_mov_b32_e32 v184, v83
	v_pk_fma_f32 v[202:203], v[182:183], v[74:75], v[92:93] op_sel:[0,0,1] op_sel_hi:[1,1,0] neg_lo:[0,0,1] neg_hi:[0,0,1]
	v_pk_fma_f32 v[182:183], v[182:183], v[74:75], v[92:93] op_sel:[0,0,1] op_sel_hi:[1,0,0]
	ds_read2_b64 v[92:95], v155 offset0:42 offset1:177
	v_pk_mul_f32 v[190:191], v[180:181], v[184:185] op_sel_hi:[1,0]
	s_waitcnt vmcnt(1)
	v_mov_b32_e32 v182, v87
	v_pk_fma_f32 v[204:205], v[180:181], v[82:83], v[190:191] op_sel:[0,0,1] op_sel_hi:[1,1,0] neg_lo:[0,0,1] neg_hi:[0,0,1]
	v_pk_fma_f32 v[180:181], v[180:181], v[82:83], v[190:191] op_sel:[0,0,1] op_sel_hi:[1,0,0]
	s_waitcnt lgkmcnt(0)
	v_pk_mul_f32 v[190:191], v[94:95], v[80:81] op_sel:[0,1]
	s_waitcnt vmcnt(0)
	v_mov_b32_e32 v180, v91
	v_pk_fma_f32 v[206:207], v[94:95], v[80:81], v[190:191] op_sel:[0,0,1] op_sel_hi:[1,1,0] neg_lo:[0,0,1] neg_hi:[0,0,1]
	v_pk_fma_f32 v[208:209], v[94:95], v[80:81], v[190:191] op_sel:[0,0,1] op_sel_hi:[1,0,0]
	ds_read2_b64 v[190:193], v161 offset0:70 offset1:205
	v_pk_mul_f32 v[94:95], v[92:93], v[84:85] op_sel:[0,1]
	v_mov_b32_e32 v207, v209
	v_pk_fma_f32 v[210:211], v[92:93], v[84:85], v[94:95] op_sel:[0,0,1] op_sel_hi:[1,1,0] neg_lo:[0,0,1] neg_hi:[0,0,1]
	v_pk_fma_f32 v[212:213], v[92:93], v[84:85], v[94:95] op_sel:[0,0,1] op_sel_hi:[1,0,0]
	s_waitcnt lgkmcnt(0)
	v_pk_mul_f32 v[92:93], v[190:191], v[180:181] op_sel_hi:[1,0]
	v_mov_b32_e32 v211, v213
	v_pk_fma_f32 v[194:195], v[190:191], v[90:91], v[92:93] op_sel:[0,0,1] op_sel_hi:[1,1,0] neg_lo:[0,0,1] neg_hi:[0,0,1]
	v_pk_fma_f32 v[190:191], v[190:191], v[90:91], v[92:93] op_sel:[0,0,1] op_sel_hi:[1,0,0]
	v_pk_mul_f32 v[92:93], v[192:193], v[182:183] op_sel_hi:[1,0]
	v_mov_b32_e32 v195, v191
	v_pk_fma_f32 v[214:215], v[192:193], v[86:87], v[92:93] op_sel:[0,0,1] op_sel_hi:[1,1,0] neg_lo:[0,0,1] neg_hi:[0,0,1]
	v_pk_fma_f32 v[216:217], v[192:193], v[86:87], v[92:93] op_sel:[0,0,1] op_sel_hi:[1,0,0]
	ds_read2_b64 v[92:95], v165 offset0:28 offset1:163
	v_mov_b32_e32 v215, v217
	v_mov_b32_e32 v205, v181
	;; [unrolled: 1-line block ×4, first 2 shown]
	s_waitcnt lgkmcnt(0)
	v_pk_mul_f32 v[192:193], v[94:95], v[88:89] op_sel:[0,1]
	v_mov_b32_e32 v107, v103
	v_pk_fma_f32 v[196:197], v[94:95], v[88:89], v[192:193] op_sel:[0,0,1] op_sel_hi:[1,1,0] neg_lo:[0,0,1] neg_hi:[0,0,1]
	v_pk_fma_f32 v[94:95], v[94:95], v[88:89], v[192:193] op_sel:[0,0,1] op_sel_hi:[1,0,0]
	ds_read2_b64 v[190:193], v108 offset1:135
	v_mov_b32_e32 v197, v95
	v_pk_add_f32 v[218:219], v[196:197], v[194:195]
	s_waitcnt lgkmcnt(0)
	v_pk_add_f32 v[94:95], v[190:191], v[196:197]
	s_nop 0
	v_pk_add_f32 v[94:95], v[94:95], v[194:195]
	v_pk_add_f32 v[194:195], v[196:197], v[194:195] neg_lo:[0,1] neg_hi:[0,1]
	v_pk_fma_f32 v[190:191], v[218:219], 0.5, v[190:191] op_sel_hi:[1,0,1] neg_lo:[1,0,0] neg_hi:[1,0,0]
	v_pk_mul_f32 v[194:195], v[194:195], s[2:3] op_sel_hi:[1,0]
	v_pk_add_f32 v[98:99], v[192:193], v[210:211]
	v_pk_add_f32 v[218:219], v[190:191], v[194:195] op_sel:[0,1] op_sel_hi:[1,0] neg_lo:[0,1] neg_hi:[0,1]
	v_pk_add_f32 v[190:191], v[190:191], v[194:195] op_sel:[0,1] op_sel_hi:[1,0]
	v_mov_b32_e32 v223, v219
	v_mov_b32_e32 v222, v190
	ds_read_b64 v[220:221], v108 offset:15120
	ds_read2_b64 v[194:197], v153 offset0:14 offset1:149
	s_waitcnt lgkmcnt(0)
	s_barrier
	ds_write2_b64 v108, v[94:95], v[222:223] offset1:225
	v_pk_add_f32 v[94:95], v[210:211], v[214:215]
	v_mov_b32_e32 v219, v191
	v_pk_add_f32 v[190:191], v[210:211], v[214:215] neg_lo:[0,1] neg_hi:[0,1]
	v_pk_fma_f32 v[94:95], v[94:95], 0.5, v[192:193] op_sel_hi:[1,0,1] neg_lo:[1,0,0] neg_hi:[1,0,0]
	v_pk_mul_f32 v[190:191], v[190:191], s[2:3] op_sel_hi:[1,0]
	v_pk_add_f32 v[98:99], v[98:99], v[214:215]
	v_pk_add_f32 v[192:193], v[94:95], v[190:191] op_sel:[0,1] op_sel_hi:[1,0]
	v_pk_add_f32 v[94:95], v[94:95], v[190:191] op_sel:[0,1] op_sel_hi:[1,0] neg_lo:[0,1] neg_hi:[0,1]
	v_mov_b32_e32 v190, v192
	v_mov_b32_e32 v191, v95
	ds_write_b64 v108, v[218:219] offset:3600
	ds_write2_b64 v59, v[98:99], v[190:191] offset1:225
	v_pk_add_f32 v[98:99], v[206:207], v[204:205]
	v_pk_add_f32 v[190:191], v[206:207], v[204:205] neg_lo:[0,1] neg_hi:[0,1]
	v_pk_fma_f32 v[98:99], v[98:99], 0.5, v[194:195] op_sel_hi:[1,0,1] neg_lo:[1,0,0] neg_hi:[1,0,0]
	v_pk_mul_f32 v[190:191], v[190:191], s[2:3] op_sel_hi:[1,0]
	v_mov_b32_e32 v95, v193
	v_pk_add_f32 v[208:209], v[98:99], v[190:191] op_sel:[0,1] op_sel_hi:[1,0] neg_lo:[0,1] neg_hi:[0,1]
	v_pk_add_f32 v[98:99], v[98:99], v[190:191] op_sel:[0,1] op_sel_hi:[1,0]
	ds_write_b64 v59, v[94:95] offset:3600
	v_pk_add_f32 v[94:95], v[194:195], v[206:207]
	v_mov_b32_e32 v190, v98
	v_pk_add_f32 v[94:95], v[94:95], v[204:205]
	v_mov_b32_e32 v191, v209
	ds_write2_b64 v67, v[94:95], v[190:191] offset0:16 offset1:241
	v_pk_add_f32 v[94:95], v[200:201], v[202:203]
	v_pk_add_f32 v[192:193], v[200:201], v[202:203] neg_lo:[0,1] neg_hi:[0,1]
	v_pk_fma_f32 v[94:95], v[94:95], 0.5, v[196:197] op_sel_hi:[1,0,1] neg_lo:[1,0,0] neg_hi:[1,0,0]
	v_pk_mul_f32 v[192:193], v[192:193], s[2:3] op_sel_hi:[1,0]
	v_pk_add_f32 v[190:191], v[196:197], v[200:201]
	v_pk_add_f32 v[194:195], v[94:95], v[192:193] op_sel:[0,1] op_sel_hi:[1,0] neg_lo:[0,1] neg_hi:[0,1]
	v_pk_add_f32 v[94:95], v[94:95], v[192:193] op_sel:[0,1] op_sel_hi:[1,0]
	v_mov_b32_e32 v209, v99
	v_pk_add_f32 v[98:99], v[190:191], v[202:203]
	v_mov_b32_e32 v190, v94
	v_mov_b32_e32 v191, v195
	;; [unrolled: 1-line block ×3, first 2 shown]
	ds_write_b64 v108, v[208:209] offset:9360
	ds_write2_b64 v63, v[98:99], v[190:191] offset1:225
	v_pk_mul_f32 v[98:99], v[220:221], v[200:201] op_sel_hi:[1,0]
	v_mov_b32_e32 v195, v95
	v_pk_fma_f32 v[102:103], v[220:221], v[70:71], v[98:99] op_sel:[0,0,1] op_sel_hi:[1,1,0] neg_lo:[0,0,1] neg_hi:[0,0,1]
	v_pk_fma_f32 v[98:99], v[220:221], v[70:71], v[98:99] op_sel:[0,0,1] op_sel_hi:[1,0,0]
	v_lshlrev_b32_e32 v71, 3, v97
	v_mov_b32_e32 v103, v99
	v_pk_add_f32 v[98:99], v[106:107], v[102:103]
	v_add_u32_e32 v75, 0x2a00, v71
	v_pk_fma_f32 v[98:99], v[98:99], 0.5, v[92:93] op_sel_hi:[1,0,1] neg_lo:[1,0,0] neg_hi:[1,0,0]
	v_pk_add_f32 v[92:93], v[92:93], v[106:107]
	v_pk_add_f32 v[106:107], v[106:107], v[102:103] neg_lo:[0,1] neg_hi:[0,1]
	v_pk_add_f32 v[92:93], v[92:93], v[102:103]
	v_pk_mul_f32 v[106:107], v[106:107], s[2:3] op_sel_hi:[1,0]
	ds_write_b64 v63, v[194:195] offset:3600
	v_pk_add_f32 v[190:191], v[98:99], v[106:107] op_sel:[0,1] op_sel_hi:[1,0] neg_lo:[0,1] neg_hi:[0,1]
	v_pk_add_f32 v[98:99], v[98:99], v[106:107] op_sel:[0,1] op_sel_hi:[1,0]
	v_mov_b32_e32 v95, v191
	v_mov_b32_e32 v94, v98
	;; [unrolled: 1-line block ×3, first 2 shown]
	ds_write2_b64 v75, v[92:93], v[94:95] offset0:6 offset1:231
	ds_write_b64 v71, v[190:191] offset:14400
	v_lshl_add_u64 v[92:93], s[10:11], 0, v[76:77]
	s_waitcnt lgkmcnt(0)
	s_barrier
	global_load_dwordx4 v[76:79], v[78:79], off offset:1280
	v_add_co_u32_e32 v92, vcc, s3, v92
	v_mov_b32_e32 v97, v109
	s_nop 0
	v_addc_co_u32_e32 v93, vcc, 0, v93, vcc
	global_load_dwordx4 v[92:95], v[92:93], off offset:1280
	v_lshl_add_u64 v[96:97], s[10:11], 0, v[96:97]
	v_add_co_u32_e32 v96, vcc, s3, v96
	ds_read2_b64 v[192:195], v161 offset0:70 offset1:205
	s_nop 0
	v_addc_co_u32_e32 v97, vcc, 0, v97, vcc
	global_load_dwordx4 v[96:99], v[96:97], off offset:1280
	v_add_co_u32_e32 v100, vcc, s3, v100
	ds_read2_b64 v[202:205], v155 offset0:42 offset1:177
	s_nop 0
	v_addc_co_u32_e32 v101, vcc, 0, v101, vcc
	global_load_dwordx4 v[100:103], v[100:101], off offset:1280
	ds_read2_b64 v[206:209], v159 offset0:84 offset1:219
	v_add_co_u32_e32 v104, vcc, s3, v104
	s_mov_b64 s[10:11], 0x3f48
	s_nop 0
	v_addc_co_u32_e32 v105, vcc, 0, v105, vcc
	s_waitcnt vmcnt(3)
	v_mov_b32_e32 v190, v79
	s_waitcnt lgkmcnt(2)
	v_pk_mul_f32 v[106:107], v[192:193], v[190:191] op_sel_hi:[1,0]
	s_nop 0
	v_pk_fma_f32 v[210:211], v[192:193], v[78:79], v[106:107] op_sel:[0,0,1] op_sel_hi:[1,1,0] neg_lo:[0,0,1] neg_hi:[0,0,1]
	v_pk_fma_f32 v[192:193], v[192:193], v[78:79], v[106:107] op_sel:[0,0,1] op_sel_hi:[1,0,0]
	s_waitcnt vmcnt(2)
	v_mov_b32_e32 v192, v95
	v_pk_mul_f32 v[106:107], v[194:195], v[192:193] op_sel_hi:[1,0]
	v_mov_b32_e32 v211, v193
	v_pk_fma_f32 v[214:215], v[194:195], v[94:95], v[106:107] op_sel:[0,0,1] op_sel_hi:[1,1,0] neg_lo:[0,0,1] neg_hi:[0,0,1]
	v_pk_fma_f32 v[194:195], v[194:195], v[94:95], v[106:107] op_sel:[0,0,1] op_sel_hi:[1,0,0]
	s_waitcnt lgkmcnt(1)
	v_pk_mul_f32 v[106:107], v[202:203], v[92:93] op_sel:[0,1]
	v_mov_b32_e32 v215, v195
	v_pk_fma_f32 v[216:217], v[202:203], v[92:93], v[106:107] op_sel:[0,0,1] op_sel_hi:[1,1,0] neg_lo:[0,0,1] neg_hi:[0,0,1]
	v_pk_fma_f32 v[196:197], v[202:203], v[92:93], v[106:107] op_sel:[0,0,1] op_sel_hi:[1,0,0]
	s_waitcnt vmcnt(1)
	v_pk_mul_f32 v[106:107], v[204:205], v[96:97] op_sel:[0,1]
	v_mov_b32_e32 v194, v99
	v_pk_fma_f32 v[218:219], v[204:205], v[96:97], v[106:107] op_sel:[0,0,1] op_sel_hi:[1,1,0] neg_lo:[0,0,1] neg_hi:[0,0,1]
	v_pk_fma_f32 v[220:221], v[204:205], v[96:97], v[106:107] op_sel:[0,0,1] op_sel_hi:[1,0,0]
	ds_read2_b64 v[202:205], v151 offset0:56 offset1:191
	s_waitcnt lgkmcnt(1)
	v_pk_mul_f32 v[106:107], v[206:207], v[194:195] op_sel_hi:[1,0]
	s_waitcnt vmcnt(0)
	v_mov_b32_e32 v196, v103
	v_pk_fma_f32 v[222:223], v[206:207], v[98:99], v[106:107] op_sel:[0,0,1] op_sel_hi:[1,1,0] neg_lo:[0,0,1] neg_hi:[0,0,1]
	v_pk_fma_f32 v[224:225], v[206:207], v[98:99], v[106:107] op_sel:[0,0,1] op_sel_hi:[1,0,0]
	v_pk_mul_f32 v[106:107], v[208:209], v[196:197] op_sel_hi:[1,0]
	v_mov_b32_e32 v217, v197
	v_pk_fma_f32 v[226:227], v[208:209], v[102:103], v[106:107] op_sel:[0,0,1] op_sel_hi:[1,1,0] neg_lo:[0,0,1] neg_hi:[0,0,1]
	v_pk_fma_f32 v[228:229], v[208:209], v[102:103], v[106:107] op_sel:[0,0,1] op_sel_hi:[1,0,0]
	s_waitcnt lgkmcnt(0)
	v_pk_mul_f32 v[106:107], v[202:203], v[100:101] op_sel:[0,1]
	v_mov_b32_e32 v219, v221
	v_pk_fma_f32 v[230:231], v[202:203], v[100:101], v[106:107] op_sel:[0,0,1] op_sel_hi:[1,1,0] neg_lo:[0,0,1] neg_hi:[0,0,1]
	v_pk_fma_f32 v[202:203], v[202:203], v[100:101], v[106:107] op_sel:[0,0,1] op_sel_hi:[1,0,0]
	global_load_dwordx4 v[104:107], v[104:105], off offset:1280
	v_mov_b32_e32 v223, v225
	v_mov_b32_e32 v231, v203
	;; [unrolled: 1-line block ×3, first 2 shown]
	s_waitcnt vmcnt(0)
	v_pk_mul_f32 v[206:207], v[204:205], v[104:105] op_sel:[0,1]
	s_nop 0
	v_pk_fma_f32 v[232:233], v[204:205], v[104:105], v[206:207] op_sel:[0,0,1] op_sel_hi:[1,1,0] neg_lo:[0,0,1] neg_hi:[0,0,1]
	v_pk_fma_f32 v[234:235], v[204:205], v[104:105], v[206:207] op_sel:[0,0,1] op_sel_hi:[1,0,0]
	ds_read2_b64 v[204:207], v165 offset0:28 offset1:163
	v_mov_b32_e32 v233, v235
	s_waitcnt lgkmcnt(0)
	v_pk_mul_f32 v[208:209], v[206:207], v[76:77] op_sel:[0,1]
	s_nop 0
	v_pk_fma_f32 v[212:213], v[206:207], v[76:77], v[208:209] op_sel:[0,0,1] op_sel_hi:[1,1,0] neg_lo:[0,0,1] neg_hi:[0,0,1]
	v_pk_fma_f32 v[206:207], v[206:207], v[76:77], v[208:209] op_sel:[0,0,1] op_sel_hi:[1,0,0]
	s_nop 0
	v_mov_b32_e32 v213, v207
	ds_read2_b64 v[206:209], v108 offset1:135
	v_pk_add_f32 v[238:239], v[212:213], v[210:211]
	s_waitcnt lgkmcnt(0)
	v_pk_add_f32 v[236:237], v[206:207], v[212:213]
	s_nop 0
	v_pk_add_f32 v[236:237], v[236:237], v[210:211]
	v_pk_add_f32 v[210:211], v[212:213], v[210:211] neg_lo:[0,1] neg_hi:[0,1]
	v_pk_fma_f32 v[206:207], v[238:239], 0.5, v[206:207] op_sel_hi:[1,0,1] neg_lo:[1,0,0] neg_hi:[1,0,0]
	v_pk_mul_f32 v[210:211], v[210:211], s[2:3] op_sel_hi:[1,0]
	s_nop 0
	v_pk_add_f32 v[212:213], v[206:207], v[210:211] op_sel:[0,1] op_sel_hi:[1,0]
	v_pk_add_f32 v[206:207], v[206:207], v[210:211] op_sel:[0,1] op_sel_hi:[1,0] neg_lo:[0,1] neg_hi:[0,1]
	v_mov_b32_e32 v210, v212
	v_mov_b32_e32 v211, v207
	;; [unrolled: 1-line block ×3, first 2 shown]
	ds_write_b64 v108, v[210:211] offset:5400
	ds_write_b64 v108, v[206:207] offset:10800
	v_pk_add_f32 v[206:207], v[208:209], v[216:217]
	ds_read_b64 v[238:239], v108 offset:15120
	ds_read2_b64 v[210:213], v153 offset0:14 offset1:149
	v_pk_add_f32 v[206:207], v[206:207], v[214:215]
	ds_write2_b64 v108, v[236:237], v[206:207] offset1:135
	v_pk_add_f32 v[206:207], v[216:217], v[214:215]
	s_waitcnt lgkmcnt(1)
	v_pk_add_f32 v[202:203], v[212:213], v[230:231]
	v_pk_fma_f32 v[206:207], v[206:207], 0.5, v[208:209] op_sel_hi:[1,0,1] neg_lo:[1,0,0] neg_hi:[1,0,0]
	v_pk_add_f32 v[208:209], v[216:217], v[214:215] neg_lo:[0,1] neg_hi:[0,1]
	v_pk_add_f32 v[216:217], v[218:219], v[222:223] neg_lo:[0,1] neg_hi:[0,1]
	v_pk_mul_f32 v[208:209], v[208:209], s[2:3] op_sel_hi:[1,0]
	v_pk_mul_f32 v[216:217], v[216:217], s[2:3] op_sel_hi:[1,0]
	v_pk_add_f32 v[214:215], v[206:207], v[208:209] op_sel:[0,1] op_sel_hi:[1,0]
	v_pk_add_f32 v[206:207], v[206:207], v[208:209] op_sel:[0,1] op_sel_hi:[1,0] neg_lo:[0,1] neg_hi:[0,1]
	v_pk_add_f32 v[208:209], v[218:219], v[222:223]
	v_pk_add_f32 v[202:203], v[202:203], v[226:227]
	v_pk_fma_f32 v[208:209], v[208:209], 0.5, v[210:211] op_sel_hi:[1,0,1] neg_lo:[1,0,0] neg_hi:[1,0,0]
	s_nop 0
	v_pk_add_f32 v[220:221], v[208:209], v[216:217] op_sel:[0,1] op_sel_hi:[1,0]
	v_pk_add_f32 v[208:209], v[208:209], v[216:217] op_sel:[0,1] op_sel_hi:[1,0] neg_lo:[0,1] neg_hi:[0,1]
	v_mov_b32_e32 v217, v207
	v_mov_b32_e32 v225, v209
	;; [unrolled: 1-line block ×4, first 2 shown]
	ds_write2_b64 v163, v[206:207], v[208:209] offset0:77 offset1:212
	v_pk_add_f32 v[206:207], v[210:211], v[218:219]
	v_mov_b32_e32 v216, v214
	v_pk_add_f32 v[206:207], v[206:207], v[222:223]
	ds_write2_b64 v153, v[206:207], v[202:203] offset0:14 offset1:149
	v_pk_add_f32 v[202:203], v[230:231], v[226:227]
	v_mov_b32_e32 v224, v220
	v_pk_fma_f32 v[206:207], v[202:203], 0.5, v[212:213] op_sel_hi:[1,0,1] neg_lo:[1,0,0] neg_hi:[1,0,0]
	v_mov_b32_e32 v202, v107
	v_pk_mul_f32 v[208:209], v[238:239], v[202:203] op_sel_hi:[1,0]
	v_pk_add_f32 v[212:213], v[230:231], v[226:227] neg_lo:[0,1] neg_hi:[0,1]
	v_pk_fma_f32 v[210:211], v[238:239], v[106:107], v[208:209] op_sel:[0,0,1] op_sel_hi:[1,1,0] neg_lo:[0,0,1] neg_hi:[0,0,1]
	v_pk_fma_f32 v[208:209], v[238:239], v[106:107], v[208:209] op_sel:[0,0,1] op_sel_hi:[1,0,0]
	v_pk_mul_f32 v[212:213], v[212:213], s[2:3] op_sel_hi:[1,0]
	v_mov_b32_e32 v211, v209
	v_pk_add_f32 v[208:209], v[232:233], v[210:211]
	v_pk_add_f32 v[214:215], v[206:207], v[212:213] op_sel:[0,1] op_sel_hi:[1,0]
	v_pk_add_f32 v[206:207], v[206:207], v[212:213] op_sel:[0,1] op_sel_hi:[1,0] neg_lo:[0,1] neg_hi:[0,1]
	v_pk_add_f32 v[212:213], v[232:233], v[210:211] neg_lo:[0,1] neg_hi:[0,1]
	v_pk_fma_f32 v[208:209], v[208:209], 0.5, v[204:205] op_sel_hi:[1,0,1] neg_lo:[1,0,0] neg_hi:[1,0,0]
	v_pk_mul_f32 v[212:213], v[212:213], s[2:3] op_sel_hi:[1,0]
	ds_write2_b64 v155, v[216:217], v[224:225] offset0:42 offset1:177
	v_pk_add_f32 v[204:205], v[204:205], v[232:233]
	v_pk_add_f32 v[216:217], v[208:209], v[212:213] op_sel:[0,1] op_sel_hi:[1,0]
	v_pk_add_f32 v[208:209], v[208:209], v[212:213] op_sel:[0,1] op_sel_hi:[1,0] neg_lo:[0,1] neg_hi:[0,1]
	v_mov_b32_e32 v212, v214
	v_mov_b32_e32 v213, v207
	;; [unrolled: 1-line block ×6, first 2 shown]
	v_pk_add_f32 v[204:205], v[204:205], v[210:211]
	ds_write2_b64 v151, v[212:213], v[218:219] offset0:56 offset1:191
	ds_write2_b64 v111, v[206:207], v[208:209] offset0:91 offset1:226
	ds_write_b64 v108, v[204:205] offset:4320
	s_waitcnt lgkmcnt(0)
	s_barrier
	global_load_dwordx2 v[156:157], v[156:157], off offset:3912
	v_lshl_add_u64 v[208:209], v[146:147], 0, s[10:11]
	global_load_dwordx2 v[210:211], v[208:209], off offset:1080
	ds_read2_b64 v[204:207], v108 offset1:135
	s_movk_i32 s3, 0x6000
	global_load_dwordx2 v[212:213], v[208:209], off offset:2160
	s_nop 0
	global_load_dwordx2 v[208:209], v[208:209], off offset:3240
	s_waitcnt vmcnt(3) lgkmcnt(0)
	v_mul_f32_e32 v79, v205, v157
	v_mul_f32_e32 v215, v204, v157
	v_fma_f32 v214, v204, v156, -v79
	v_fmac_f32_e32 v215, v205, v156
	v_add_co_u32_e32 v156, vcc, s3, v146
	s_waitcnt vmcnt(2)
	v_mul_f32_e32 v79, v207, v211
	v_addc_co_u32_e32 v157, vcc, 0, v147, vcc
	global_load_dwordx2 v[216:217], v[156:157], off offset:2424
	v_mul_f32_e32 v219, v206, v211
	v_fma_f32 v218, v206, v210, -v79
	v_fmac_f32_e32 v219, v207, v210
	global_load_dwordx2 v[210:211], v[156:157], off offset:3504
	ds_write_b64 v108, v[214:215]
	ds_read2_b64 v[204:207], v161 offset0:70 offset1:205
	global_load_dwordx2 v[214:215], v[156:157], off offset:1344
	s_movk_i32 s3, 0x5000
	s_waitcnt vmcnt(2) lgkmcnt(0)
	v_mul_f32_e32 v79, v205, v217
	v_fma_f32 v220, v204, v216, -v79
	v_mul_f32_e32 v221, v204, v217
	v_fmac_f32_e32 v221, v205, v216
	s_waitcnt vmcnt(1)
	v_mul_f32_e32 v79, v207, v211
	v_mul_f32_e32 v217, v206, v211
	v_fma_f32 v216, v206, v210, -v79
	v_fmac_f32_e32 v217, v207, v210
	v_add_co_u32_e32 v210, vcc, s3, v146
	s_movk_i32 s3, 0x7000
	s_nop 0
	v_addc_co_u32_e32 v211, vcc, 0, v147, vcc
	global_load_dwordx2 v[222:223], v[210:211], off offset:2200
	global_load_dwordx2 v[224:225], v[210:211], off offset:3280
	;; [unrolled: 1-line block ×3, first 2 shown]
	ds_read2_b64 v[204:207], v155 offset0:42 offset1:177
	v_add_co_u32_e32 v146, vcc, s3, v146
	s_waitcnt vmcnt(2) lgkmcnt(0)
	v_mul_f32_e32 v79, v205, v223
	v_fma_f32 v228, v204, v222, -v79
	v_mul_f32_e32 v229, v204, v223
	s_waitcnt vmcnt(1)
	v_mul_f32_e32 v79, v207, v225
	v_mul_f32_e32 v223, v206, v225
	v_fmac_f32_e32 v229, v205, v222
	v_fma_f32 v222, v206, v224, -v79
	v_fmac_f32_e32 v223, v207, v224
	ds_read2_b64 v[204:207], v153 offset0:14 offset1:149
	v_addc_co_u32_e32 v147, vcc, 0, v147, vcc
	s_waitcnt lgkmcnt(0)
	v_mul_f32_e32 v79, v205, v213
	v_fma_f32 v224, v204, v212, -v79
	v_mul_f32_e32 v225, v204, v213
	v_mul_f32_e32 v79, v207, v209
	;; [unrolled: 1-line block ×3, first 2 shown]
	v_fmac_f32_e32 v225, v205, v212
	v_fma_f32 v212, v206, v208, -v79
	v_fmac_f32_e32 v213, v207, v208
	global_load_dwordx2 v[208:209], v[146:147], off offset:488
	global_load_dwordx2 v[230:231], v[146:147], off offset:1568
	s_nop 0
	global_load_dwordx2 v[146:147], v[146:147], off offset:2648
	ds_read2_b64 v[204:207], v159 offset0:84 offset1:219
	global_load_dwordx2 v[210:211], v[210:211], off offset:40
	s_waitcnt vmcnt(3) lgkmcnt(0)
	v_mul_f32_e32 v79, v205, v209
	global_load_dwordx2 v[156:157], v[156:157], off offset:264
	v_fma_f32 v232, v204, v208, -v79
	v_mul_f32_e32 v233, v204, v209
	s_waitcnt vmcnt(3)
	v_mul_f32_e32 v79, v207, v231
	v_mul_f32_e32 v209, v206, v231
	v_fmac_f32_e32 v233, v205, v208
	v_fma_f32 v208, v206, v230, -v79
	v_fmac_f32_e32 v209, v207, v230
	ds_read2_b64 v[204:207], v165 offset0:28 offset1:163
	s_waitcnt lgkmcnt(0)
	v_mul_f32_e32 v79, v207, v227
	v_fma_f32 v230, v206, v226, -v79
	v_mul_f32_e32 v231, v206, v227
	s_waitcnt vmcnt(1)
	v_mul_f32_e32 v79, v205, v211
	v_mul_f32_e32 v227, v204, v211
	v_fmac_f32_e32 v231, v207, v226
	v_fma_f32 v226, v204, v210, -v79
	v_fmac_f32_e32 v227, v205, v210
	ds_read2_b64 v[204:207], v151 offset0:56 offset1:191
	s_waitcnt vmcnt(0) lgkmcnt(0)
	v_mul_f32_e32 v79, v205, v157
	v_fma_f32 v210, v204, v156, -v79
	v_mul_f32_e32 v211, v204, v157
	v_mul_f32_e32 v79, v207, v215
	v_fmac_f32_e32 v211, v205, v156
	v_fma_f32 v156, v206, v214, -v79
	v_add_u32_e32 v79, 0x1400, v108
	ds_read_b64 v[204:205], v108 offset:15120
	ds_write2_b64 v79, v[230:231], v[228:229] offset0:35 offset1:170
	v_add_u32_e32 v79, 0x400, v108
	ds_write2_b64 v79, v[218:219], v[224:225] offset0:7 offset1:142
	v_add_u32_e32 v79, 0x1c00, v108
	v_mul_f32_e32 v157, v206, v215
	ds_write2_b64 v79, v[222:223], v[210:211] offset0:49 offset1:184
	v_add_u32_e32 v79, 0xc00, v108
	v_fmac_f32_e32 v157, v207, v214
	ds_write2_b64 v79, v[212:213], v[226:227] offset0:21 offset1:156
	v_add_u32_e32 v79, 0x2400, v108
	ds_write2_b64 v79, v[156:157], v[220:221] offset0:63 offset1:198
	ds_write2_b64 v163, v[216:217], v[232:233] offset0:77 offset1:212
	s_waitcnt lgkmcnt(6)
	v_mul_f32_e32 v79, v205, v147
	v_mul_f32_e32 v157, v204, v147
	v_fma_f32 v156, v204, v146, -v79
	v_fmac_f32_e32 v157, v205, v146
	ds_write2_b64 v111, v[208:209], v[156:157] offset0:91 offset1:226
	s_waitcnt lgkmcnt(0)
	s_barrier
	ds_read2_b64 v[204:207], v161 offset0:70 offset1:205
	ds_read2_b64 v[208:211], v165 offset0:28 offset1:163
	ds_read2_b64 v[212:215], v108 offset1:135
	s_waitcnt lgkmcnt(1)
	v_pk_add_f32 v[146:147], v[210:211], v[204:205]
	v_pk_add_f32 v[156:157], v[210:211], v[204:205] neg_lo:[0,1] neg_hi:[0,1]
	s_waitcnt lgkmcnt(0)
	v_pk_fma_f32 v[146:147], v[146:147], 0.5, v[212:213] op_sel_hi:[1,0,1] neg_lo:[1,0,0] neg_hi:[1,0,0]
	v_pk_mul_f32 v[156:157], v[156:157], s[2:3] op_sel_hi:[1,0]
	s_nop 0
	v_pk_add_f32 v[228:229], v[146:147], v[156:157] op_sel:[0,1] op_sel_hi:[1,0] neg_lo:[0,1] neg_hi:[0,1]
	v_pk_add_f32 v[146:147], v[146:147], v[156:157] op_sel:[0,1] op_sel_hi:[1,0]
	v_pk_add_f32 v[156:157], v[212:213], v[210:211]
	v_mov_b32_e32 v230, v228
	v_pk_add_f32 v[156:157], v[156:157], v[204:205]
	ds_read_b64 v[204:205], v108 offset:15120
	ds_read2_b64 v[210:213], v155 offset0:42 offset1:177
	ds_read2_b64 v[216:219], v153 offset0:14 offset1:149
	ds_read2_b64 v[220:223], v159 offset0:84 offset1:219
	ds_read2_b64 v[224:227], v151 offset0:56 offset1:191
	v_mov_b32_e32 v231, v147
	s_waitcnt lgkmcnt(0)
	s_barrier
	ds_write2_b64 v167, v[156:157], v[230:231] offset1:1
	v_mov_b32_e32 v147, v229
	v_pk_add_f32 v[156:157], v[214:215], v[210:211]
	ds_write_b64 v167, v[146:147] offset:16
	v_pk_add_f32 v[146:147], v[210:211], v[206:207]
	v_pk_add_f32 v[156:157], v[156:157], v[206:207]
	v_pk_add_f32 v[206:207], v[210:211], v[206:207] neg_lo:[0,1] neg_hi:[0,1]
	v_pk_fma_f32 v[146:147], v[146:147], 0.5, v[214:215] op_sel_hi:[1,0,1] neg_lo:[1,0,0] neg_hi:[1,0,0]
	v_pk_mul_f32 v[206:207], v[206:207], s[2:3] op_sel_hi:[1,0]
	s_nop 0
	v_pk_add_f32 v[210:211], v[146:147], v[206:207] op_sel:[0,1] op_sel_hi:[1,0] neg_lo:[0,1] neg_hi:[0,1]
	v_pk_add_f32 v[146:147], v[146:147], v[206:207] op_sel:[0,1] op_sel_hi:[1,0]
	v_mov_b32_e32 v206, v210
	v_mov_b32_e32 v207, v147
	ds_write2_b64 v169, v[156:157], v[206:207] offset1:1
	v_pk_add_f32 v[156:157], v[212:213], v[220:221]
	v_pk_add_f32 v[206:207], v[212:213], v[220:221] neg_lo:[0,1] neg_hi:[0,1]
	v_mov_b32_e32 v147, v211
	v_pk_fma_f32 v[156:157], v[156:157], 0.5, v[216:217] op_sel_hi:[1,0,1] neg_lo:[1,0,0] neg_hi:[1,0,0]
	v_pk_mul_f32 v[206:207], v[206:207], s[2:3] op_sel_hi:[1,0]
	ds_write_b64 v169, v[146:147] offset:16
	v_pk_add_f32 v[146:147], v[216:217], v[212:213]
	v_pk_add_f32 v[210:211], v[156:157], v[206:207] op_sel:[0,1] op_sel_hi:[1,0] neg_lo:[0,1] neg_hi:[0,1]
	v_pk_add_f32 v[156:157], v[156:157], v[206:207] op_sel:[0,1] op_sel_hi:[1,0]
	v_pk_add_f32 v[146:147], v[146:147], v[220:221]
	v_mov_b32_e32 v206, v210
	v_mov_b32_e32 v207, v157
	ds_write2_b64 v171, v[146:147], v[206:207] offset1:1
	v_pk_add_f32 v[146:147], v[224:225], v[222:223]
	v_pk_add_f32 v[206:207], v[224:225], v[222:223] neg_lo:[0,1] neg_hi:[0,1]
	v_mov_b32_e32 v157, v211
	v_pk_fma_f32 v[146:147], v[146:147], 0.5, v[218:219] op_sel_hi:[1,0,1] neg_lo:[1,0,0] neg_hi:[1,0,0]
	v_pk_mul_f32 v[206:207], v[206:207], s[2:3] op_sel_hi:[1,0]
	ds_write_b64 v171, v[156:157] offset:16
	v_pk_add_f32 v[156:157], v[218:219], v[224:225]
	v_pk_add_f32 v[210:211], v[146:147], v[206:207] op_sel:[0,1] op_sel_hi:[1,0] neg_lo:[0,1] neg_hi:[0,1]
	v_pk_add_f32 v[146:147], v[146:147], v[206:207] op_sel:[0,1] op_sel_hi:[1,0]
	v_pk_add_f32 v[156:157], v[156:157], v[222:223]
	v_mov_b32_e32 v206, v210
	v_mov_b32_e32 v207, v147
	;; [unrolled: 1-line block ×3, first 2 shown]
	ds_write2_b64 v173, v[156:157], v[206:207] offset1:1
	ds_write_b64 v173, v[146:147] offset:16
	v_pk_add_f32 v[146:147], v[226:227], v[204:205]
	v_pk_add_f32 v[156:157], v[208:209], v[226:227]
	v_pk_add_f32 v[206:207], v[226:227], v[204:205] neg_lo:[0,1] neg_hi:[0,1]
	v_pk_fma_f32 v[146:147], v[146:147], 0.5, v[208:209] op_sel_hi:[1,0,1] neg_lo:[1,0,0] neg_hi:[1,0,0]
	v_pk_add_f32 v[156:157], v[156:157], v[204:205]
	v_pk_mul_f32 v[204:205], v[206:207], s[2:3] op_sel_hi:[1,0]
	s_nop 0
	v_pk_add_f32 v[206:207], v[146:147], v[204:205] op_sel:[0,1] op_sel_hi:[1,0] neg_lo:[0,1] neg_hi:[0,1]
	v_pk_add_f32 v[146:147], v[146:147], v[204:205] op_sel:[0,1] op_sel_hi:[1,0]
	v_mov_b32_e32 v204, v206
	v_mov_b32_e32 v205, v147
	v_mov_b32_e32 v147, v207
	ds_write2_b64 v175, v[156:157], v[204:205] offset1:1
	ds_write_b64 v175, v[146:147] offset:16
	s_waitcnt lgkmcnt(0)
	s_barrier
	ds_read_b64 v[146:147], v108 offset:15120
	ds_read2_b64 v[204:207], v151 offset0:56 offset1:191
	ds_read2_b64 v[208:211], v159 offset0:84 offset1:219
	s_waitcnt lgkmcnt(2)
	v_pk_mul_f32 v[156:157], v[166:167], v[146:147] op_sel_hi:[0,1]
	v_pk_fma_f32 v[166:167], v[6:7], v[146:147], v[156:157] op_sel:[0,0,1] op_sel_hi:[1,1,0]
	v_pk_fma_f32 v[146:147], v[6:7], v[146:147], v[156:157] op_sel:[0,0,1] op_sel_hi:[0,1,0] neg_lo:[0,0,1] neg_hi:[0,0,1]
	s_waitcnt lgkmcnt(1)
	v_pk_mul_f32 v[156:157], v[4:5], v[206:207] op_sel:[1,0]
	v_mov_b32_e32 v167, v147
	v_pk_fma_f32 v[212:213], v[4:5], v[206:207], v[156:157] op_sel:[0,0,1] op_sel_hi:[1,1,0]
	v_pk_fma_f32 v[4:5], v[4:5], v[206:207], v[156:157] op_sel:[0,0,1] op_sel_hi:[0,1,0] neg_lo:[0,0,1] neg_hi:[0,0,1]
	v_pk_mul_f32 v[156:157], v[0:1], v[204:205] op_sel:[1,0]
	v_mov_b32_e32 v213, v5
	v_pk_fma_f32 v[214:215], v[0:1], v[204:205], v[156:157] op_sel:[0,0,1] op_sel_hi:[1,1,0]
	v_pk_fma_f32 v[0:1], v[0:1], v[204:205], v[156:157] op_sel:[0,0,1] op_sel_hi:[0,1,0] neg_lo:[0,0,1] neg_hi:[0,0,1]
	ds_read2_b64 v[204:207], v155 offset0:42 offset1:177
	s_waitcnt lgkmcnt(1)
	v_pk_mul_f32 v[156:157], v[154:155], v[210:211] op_sel_hi:[0,1]
	v_pk_fma_f32 v[216:217], v[2:3], v[210:211], v[156:157] op_sel:[0,0,1] op_sel_hi:[1,1,0]
	v_pk_fma_f32 v[156:157], v[2:3], v[210:211], v[156:157] op_sel:[0,0,1] op_sel_hi:[0,1,0] neg_lo:[0,0,1] neg_hi:[0,0,1]
	v_pk_mul_f32 v[210:211], v[152:153], v[208:209] op_sel_hi:[0,1]
	v_pk_fma_f32 v[218:219], v[10:11], v[208:209], v[210:211] op_sel:[0,0,1] op_sel_hi:[1,1,0]
	v_pk_fma_f32 v[220:221], v[10:11], v[208:209], v[210:211] op_sel:[0,0,1] op_sel_hi:[0,1,0] neg_lo:[0,0,1] neg_hi:[0,0,1]
	ds_read2_b64 v[208:211], v161 offset0:70 offset1:205
	s_waitcnt lgkmcnt(1)
	v_pk_mul_f32 v[222:223], v[8:9], v[206:207] op_sel:[1,0]
	v_mov_b32_e32 v219, v221
	v_pk_fma_f32 v[224:225], v[8:9], v[206:207], v[222:223] op_sel:[0,0,1] op_sel_hi:[1,1,0]
	v_pk_fma_f32 v[8:9], v[8:9], v[206:207], v[222:223] op_sel:[0,0,1] op_sel_hi:[0,1,0] neg_lo:[0,0,1] neg_hi:[0,0,1]
	v_pk_mul_f32 v[206:207], v[12:13], v[204:205] op_sel:[1,0]
	s_waitcnt lgkmcnt(0)
	v_pk_mul_f32 v[226:227], v[148:149], v[210:211] op_sel_hi:[0,1]
	v_pk_fma_f32 v[222:223], v[12:13], v[204:205], v[206:207] op_sel:[0,0,1] op_sel_hi:[1,1,0]
	v_pk_fma_f32 v[12:13], v[12:13], v[204:205], v[206:207] op_sel:[0,0,1] op_sel_hi:[0,1,0] neg_lo:[0,0,1] neg_hi:[0,0,1]
	ds_read2_b64 v[204:207], v165 offset0:28 offset1:163
	v_pk_fma_f32 v[228:229], v[14:15], v[210:211], v[226:227] op_sel:[0,0,1] op_sel_hi:[1,1,0]
	v_pk_fma_f32 v[226:227], v[14:15], v[210:211], v[226:227] op_sel:[0,0,1] op_sel_hi:[0,1,0] neg_lo:[0,0,1] neg_hi:[0,0,1]
	v_pk_mul_f32 v[210:211], v[150:151], v[208:209] op_sel_hi:[0,1]
	v_pk_fma_f32 v[230:231], v[22:23], v[208:209], v[210:211] op_sel:[0,0,1] op_sel_hi:[1,1,0]
	v_pk_fma_f32 v[232:233], v[22:23], v[208:209], v[210:211] op_sel:[0,0,1] op_sel_hi:[0,1,0] neg_lo:[0,0,1] neg_hi:[0,0,1]
	ds_read2_b64 v[208:211], v108 offset1:135
	s_waitcnt lgkmcnt(1)
	v_pk_mul_f32 v[234:235], v[20:21], v[206:207] op_sel:[1,0]
	v_mov_b32_e32 v231, v233
	v_pk_fma_f32 v[236:237], v[20:21], v[206:207], v[234:235] op_sel:[0,0,1] op_sel_hi:[1,1,0]
	v_pk_fma_f32 v[20:21], v[20:21], v[206:207], v[234:235] op_sel:[0,0,1] op_sel_hi:[0,1,0] neg_lo:[0,0,1] neg_hi:[0,0,1]
	v_mov_b32_e32 v237, v21
	s_waitcnt lgkmcnt(0)
	v_pk_add_f32 v[20:21], v[208:209], v[236:237]
	v_pk_add_f32 v[206:207], v[236:237], v[230:231]
	;; [unrolled: 1-line block ×3, first 2 shown]
	v_pk_add_f32 v[230:231], v[236:237], v[230:231] neg_lo:[0,1] neg_hi:[0,1]
	v_pk_fma_f32 v[206:207], v[206:207], 0.5, v[208:209] op_sel_hi:[1,0,1] neg_lo:[1,0,0] neg_hi:[1,0,0]
	v_pk_mul_f32 v[208:209], v[230:231], s[2:3] op_sel_hi:[1,0]
	v_mov_b32_e32 v223, v13
	v_pk_add_f32 v[230:231], v[206:207], v[208:209] op_sel:[0,1] op_sel_hi:[1,0] neg_lo:[0,1] neg_hi:[0,1]
	v_pk_add_f32 v[232:233], v[206:207], v[208:209] op_sel:[0,1] op_sel_hi:[1,0]
	ds_read2_b64 v[206:209], v153 offset0:14 offset1:149
	v_mov_b32_e32 v234, v230
	v_mov_b32_e32 v235, v233
	;; [unrolled: 1-line block ×4, first 2 shown]
	s_waitcnt lgkmcnt(0)
	s_barrier
	ds_write2_b64 v3, v[20:21], v[234:235] offset1:3
	ds_write_b64 v3, v[232:233] offset:48
	v_pk_add_f32 v[2:3], v[222:223], v[228:229]
	v_pk_add_f32 v[20:21], v[222:223], v[228:229] neg_lo:[0,1] neg_hi:[0,1]
	v_pk_fma_f32 v[2:3], v[2:3], 0.5, v[210:211] op_sel_hi:[1,0,1] neg_lo:[1,0,0] neg_hi:[1,0,0]
	v_pk_mul_f32 v[20:21], v[20:21], s[2:3] op_sel_hi:[1,0]
	v_pk_add_f32 v[12:13], v[210:211], v[222:223]
	v_pk_add_f32 v[210:211], v[2:3], v[20:21] op_sel:[0,1] op_sel_hi:[1,0]
	v_pk_add_f32 v[2:3], v[2:3], v[20:21] op_sel:[0,1] op_sel_hi:[1,0] neg_lo:[0,1] neg_hi:[0,1]
	v_mov_b32_e32 v225, v9
	v_mov_b32_e32 v20, v2
	;; [unrolled: 1-line block ×4, first 2 shown]
	v_pk_add_f32 v[2:3], v[224:225], v[218:219]
	v_pk_add_f32 v[8:9], v[224:225], v[218:219] neg_lo:[0,1] neg_hi:[0,1]
	v_pk_add_f32 v[12:13], v[12:13], v[228:229]
	v_pk_fma_f32 v[2:3], v[2:3], 0.5, v[206:207] op_sel_hi:[1,0,1] neg_lo:[1,0,0] neg_hi:[1,0,0]
	v_pk_mul_f32 v[8:9], v[8:9], s[2:3] op_sel_hi:[1,0]
	ds_write2_b64 v11, v[12:13], v[20:21] offset1:3
	ds_write_b64 v11, v[210:211] offset:48
	v_pk_add_f32 v[10:11], v[2:3], v[8:9] op_sel:[0,1] op_sel_hi:[1,0]
	v_pk_add_f32 v[2:3], v[2:3], v[8:9] op_sel:[0,1] op_sel_hi:[1,0] neg_lo:[0,1] neg_hi:[0,1]
	v_pk_add_f32 v[8:9], v[206:207], v[224:225]
	v_mov_b32_e32 v12, v2
	v_pk_add_f32 v[8:9], v[8:9], v[218:219]
	v_mov_b32_e32 v13, v11
	v_mov_b32_e32 v215, v1
	;; [unrolled: 1-line block ×3, first 2 shown]
	ds_write2_b64 v15, v[8:9], v[12:13] offset1:3
	v_pk_add_f32 v[0:1], v[214:215], v[216:217]
	v_pk_add_f32 v[8:9], v[214:215], v[216:217] neg_lo:[0,1] neg_hi:[0,1]
	v_mov_b32_e32 v11, v3
	v_pk_fma_f32 v[0:1], v[0:1], 0.5, v[208:209] op_sel_hi:[1,0,1] neg_lo:[1,0,0] neg_hi:[1,0,0]
	v_pk_mul_f32 v[8:9], v[8:9], s[2:3] op_sel_hi:[1,0]
	ds_write_b64 v15, v[10:11] offset:48
	v_pk_add_f32 v[10:11], v[0:1], v[8:9] op_sel:[0,1] op_sel_hi:[1,0]
	v_pk_add_f32 v[0:1], v[0:1], v[8:9] op_sel:[0,1] op_sel_hi:[1,0] neg_lo:[0,1] neg_hi:[0,1]
	v_pk_add_f32 v[2:3], v[208:209], v[214:215]
	v_mov_b32_e32 v8, v0
	v_mov_b32_e32 v9, v11
	v_mov_b32_e32 v11, v1
	v_pk_add_f32 v[0:1], v[212:213], v[166:167]
	v_pk_add_f32 v[4:5], v[212:213], v[166:167] neg_lo:[0,1] neg_hi:[0,1]
	v_pk_add_f32 v[2:3], v[2:3], v[216:217]
	v_pk_fma_f32 v[0:1], v[0:1], 0.5, v[204:205] op_sel_hi:[1,0,1] neg_lo:[1,0,0] neg_hi:[1,0,0]
	v_pk_mul_f32 v[4:5], v[4:5], s[2:3] op_sel_hi:[1,0]
	ds_write2_b64 v23, v[2:3], v[8:9] offset1:3
	v_pk_add_f32 v[2:3], v[204:205], v[212:213]
	v_pk_add_f32 v[8:9], v[0:1], v[4:5] op_sel:[0,1] op_sel_hi:[1,0]
	v_pk_add_f32 v[0:1], v[0:1], v[4:5] op_sel:[0,1] op_sel_hi:[1,0] neg_lo:[0,1] neg_hi:[0,1]
	v_pk_add_f32 v[2:3], v[2:3], v[166:167]
	v_mov_b32_e32 v4, v0
	v_mov_b32_e32 v5, v9
	;; [unrolled: 1-line block ×3, first 2 shown]
	ds_write_b64 v23, v[10:11] offset:48
	ds_write2_b64 v7, v[2:3], v[4:5] offset1:3
	ds_write_b64 v7, v[8:9] offset:48
	s_waitcnt lgkmcnt(0)
	s_barrier
	ds_read_b64 v[2:3], v108 offset:15120
	ds_read2_b64 v[4:7], v161 offset0:70 offset1:205
	s_waitcnt lgkmcnt(1)
	v_pk_mul_f32 v[8:9], v[186:187], v[2:3] op_sel_hi:[0,1]
	v_pk_fma_f32 v[0:1], v[38:39], v[2:3], v[8:9] op_sel:[0,0,1] op_sel_hi:[1,1,0]
	v_pk_fma_f32 v[12:13], v[38:39], v[2:3], v[8:9] op_sel:[0,0,1] op_sel_hi:[0,1,0] neg_lo:[0,0,1] neg_hi:[0,0,1]
	ds_read2_b64 v[8:11], v159 offset0:84 offset1:219
	s_waitcnt lgkmcnt(1)
	v_pk_mul_f32 v[14:15], v[36:37], v[6:7] op_sel:[1,0]
	v_mov_b32_e32 v1, v13
	v_pk_fma_f32 v[2:3], v[36:37], v[6:7], v[14:15] op_sel:[0,0,1] op_sel_hi:[1,1,0]
	v_pk_fma_f32 v[14:15], v[36:37], v[6:7], v[14:15] op_sel:[0,0,1] op_sel_hi:[0,1,0] neg_lo:[0,0,1] neg_hi:[0,0,1]
	v_pk_mul_f32 v[6:7], v[32:33], v[4:5] op_sel:[1,0]
	v_mov_b32_e32 v3, v15
	v_pk_fma_f32 v[20:21], v[32:33], v[4:5], v[6:7] op_sel:[0,0,1] op_sel_hi:[1,1,0]
	v_pk_fma_f32 v[22:23], v[32:33], v[4:5], v[6:7] op_sel:[0,0,1] op_sel_hi:[0,1,0] neg_lo:[0,0,1] neg_hi:[0,0,1]
	s_waitcnt lgkmcnt(0)
	v_pk_mul_f32 v[32:33], v[168:169], v[10:11] op_sel_hi:[0,1]
	ds_read2_b64 v[4:7], v151 offset0:56 offset1:191
	v_pk_fma_f32 v[36:37], v[34:35], v[10:11], v[32:33] op_sel:[0,0,1] op_sel_hi:[1,1,0]
	v_pk_fma_f32 v[32:33], v[34:35], v[10:11], v[32:33] op_sel:[0,0,1] op_sel_hi:[0,1,0] neg_lo:[0,0,1] neg_hi:[0,0,1]
	v_pk_mul_f32 v[10:11], v[164:165], v[8:9] op_sel_hi:[0,1]
	v_pk_fma_f32 v[34:35], v[50:51], v[8:9], v[10:11] op_sel:[0,0,1] op_sel_hi:[1,1,0]
	v_pk_fma_f32 v[38:39], v[50:51], v[8:9], v[10:11] op_sel:[0,0,1] op_sel_hi:[0,1,0] neg_lo:[0,0,1] neg_hi:[0,0,1]
	ds_read2_b64 v[8:11], v165 offset0:28 offset1:163
	s_waitcnt lgkmcnt(1)
	v_pk_mul_f32 v[50:51], v[48:49], v[6:7] op_sel:[1,0]
	v_mov_b32_e32 v35, v39
	v_pk_fma_f32 v[146:147], v[48:49], v[6:7], v[50:51] op_sel:[0,0,1] op_sel_hi:[1,1,0]
	v_pk_fma_f32 v[48:49], v[48:49], v[6:7], v[50:51] op_sel:[0,0,1] op_sel_hi:[0,1,0] neg_lo:[0,0,1] neg_hi:[0,0,1]
	v_pk_mul_f32 v[6:7], v[162:163], v[4:5] op_sel_hi:[0,1]
	v_pk_fma_f32 v[50:51], v[18:19], v[4:5], v[6:7] op_sel:[0,0,1] op_sel_hi:[1,1,0]
	v_pk_fma_f32 v[156:157], v[18:19], v[4:5], v[6:7] op_sel:[0,0,1] op_sel_hi:[0,1,0] neg_lo:[0,0,1] neg_hi:[0,0,1]
	s_waitcnt lgkmcnt(0)
	v_pk_mul_f32 v[166:167], v[16:17], v[10:11] op_sel:[1,0]
	ds_read2_b64 v[4:7], v155 offset0:42 offset1:177
	v_pk_fma_f32 v[168:169], v[16:17], v[10:11], v[166:167] op_sel:[0,0,1] op_sel_hi:[1,1,0]
	v_pk_fma_f32 v[16:17], v[16:17], v[10:11], v[166:167] op_sel:[0,0,1] op_sel_hi:[0,1,0] neg_lo:[0,0,1] neg_hi:[0,0,1]
	v_pk_mul_f32 v[10:11], v[24:25], v[8:9] op_sel:[1,0]
	v_mov_b32_e32 v147, v49
	v_pk_fma_f32 v[166:167], v[24:25], v[8:9], v[10:11] op_sel:[0,0,1] op_sel_hi:[1,1,0]
	v_pk_fma_f32 v[24:25], v[24:25], v[8:9], v[10:11] op_sel:[0,0,1] op_sel_hi:[0,1,0] neg_lo:[0,0,1] neg_hi:[0,0,1]
	ds_read2_b64 v[8:11], v153 offset0:14 offset1:149
	s_waitcnt lgkmcnt(1)
	v_pk_mul_f32 v[186:187], v[160:161], v[6:7] op_sel_hi:[0,1]
	v_pk_fma_f32 v[204:205], v[26:27], v[6:7], v[186:187] op_sel:[0,0,1] op_sel_hi:[1,1,0]
	v_pk_fma_f32 v[26:27], v[26:27], v[6:7], v[186:187] op_sel:[0,0,1] op_sel_hi:[0,1,0] neg_lo:[0,0,1] neg_hi:[0,0,1]
	v_pk_mul_f32 v[6:7], v[158:159], v[4:5] op_sel_hi:[0,1]
	v_pk_fma_f32 v[186:187], v[30:31], v[4:5], v[6:7] op_sel:[0,0,1] op_sel_hi:[1,1,0]
	v_pk_fma_f32 v[4:5], v[30:31], v[4:5], v[6:7] op_sel:[0,0,1] op_sel_hi:[0,1,0] neg_lo:[0,0,1] neg_hi:[0,0,1]
	s_waitcnt lgkmcnt(0)
	v_pk_mul_f32 v[6:7], v[28:29], v[10:11] op_sel:[1,0]
	v_mov_b32_e32 v187, v5
	v_pk_fma_f32 v[30:31], v[28:29], v[10:11], v[6:7] op_sel:[0,0,1] op_sel_hi:[1,1,0]
	v_pk_fma_f32 v[6:7], v[28:29], v[10:11], v[6:7] op_sel:[0,0,1] op_sel_hi:[0,1,0] neg_lo:[0,0,1] neg_hi:[0,0,1]
	v_mov_b32_e32 v31, v7
	ds_read2_b64 v[4:7], v108 offset1:135
	v_pk_add_f32 v[10:11], v[30:31], v[186:187] neg_lo:[0,1] neg_hi:[0,1]
	v_pk_add_f32 v[28:29], v[34:35], v[146:147] neg_lo:[0,1] neg_hi:[0,1]
	;; [unrolled: 1-line block ×3, first 2 shown]
	v_pk_add_f32 v[10:11], v[10:11], v[28:29]
	v_pk_add_f32 v[28:29], v[186:187], v[146:147]
	v_pk_mul_f32 v[48:49], v[38:39], s[6:7] op_sel_hi:[1,0]
	s_waitcnt lgkmcnt(0)
	v_pk_fma_f32 v[28:29], v[28:29], 0.5, v[4:5] op_sel_hi:[1,0,1] neg_lo:[1,0,0] neg_hi:[1,0,0]
	s_nop 0
	v_pk_add_f32 v[206:207], v[28:29], v[48:49] op_sel:[0,1] op_sel_hi:[1,0] neg_lo:[0,1] neg_hi:[0,1]
	v_pk_add_f32 v[28:29], v[28:29], v[48:49] op_sel:[0,1] op_sel_hi:[1,0]
	v_pk_add_f32 v[48:49], v[186:187], v[146:147] neg_lo:[0,1] neg_hi:[0,1]
	s_barrier
	v_pk_mul_f32 v[208:209], v[48:49], s[12:13] op_sel_hi:[1,0]
	s_nop 0
	v_pk_add_f32 v[28:29], v[28:29], v[208:209] op_sel:[0,1] op_sel_hi:[1,0]
	v_pk_add_f32 v[206:207], v[206:207], v[208:209] op_sel:[0,1] op_sel_hi:[1,0] neg_lo:[0,1] neg_hi:[0,1]
	v_pk_add_f32 v[208:209], v[4:5], v[30:31]
	v_mov_b32_e32 v211, v29
	v_pk_add_f32 v[208:209], v[208:209], v[186:187]
	v_pk_add_f32 v[186:187], v[186:187], v[30:31] neg_lo:[0,1] neg_hi:[0,1]
	v_pk_add_f32 v[30:31], v[30:31], v[34:35]
	v_pk_add_f32 v[208:209], v[208:209], v[146:147]
	v_pk_fma_f32 v[4:5], v[30:31], 0.5, v[4:5] op_sel_hi:[1,0,1] neg_lo:[1,0,0] neg_hi:[1,0,0]
	v_pk_mul_f32 v[30:31], v[48:49], s[6:7] op_sel_hi:[1,0]
	v_pk_add_f32 v[208:209], v[208:209], v[34:35]
	v_pk_add_f32 v[48:49], v[4:5], v[30:31] op_sel:[0,1] op_sel_hi:[1,0]
	v_pk_add_f32 v[4:5], v[4:5], v[30:31] op_sel:[0,1] op_sel_hi:[1,0] neg_lo:[0,1] neg_hi:[0,1]
	v_pk_mul_f32 v[30:31], v[38:39], s[12:13] op_sel_hi:[1,0]
	v_pk_add_f32 v[34:35], v[146:147], v[34:35] neg_lo:[0,1] neg_hi:[0,1]
	v_pk_add_f32 v[4:5], v[4:5], v[30:31] op_sel:[0,1] op_sel_hi:[1,0]
	v_pk_add_f32 v[30:31], v[48:49], v[30:31] op_sel:[0,1] op_sel_hi:[1,0] neg_lo:[0,1] neg_hi:[0,1]
	v_pk_add_f32 v[34:35], v[186:187], v[34:35]
	v_mov_b32_e32 v38, v30
	v_mov_b32_e32 v39, v5
	;; [unrolled: 1-line block ×3, first 2 shown]
	v_pk_fma_f32 v[30:31], v[34:35], s[8:9], v[38:39] op_sel_hi:[1,0,1]
	v_pk_fma_f32 v[4:5], v[34:35], s[8:9], v[4:5] op_sel_hi:[1,0,1]
	v_mov_b32_e32 v29, v207
	v_mov_b32_e32 v210, v206
	ds_write2_b64 v19, v[30:31], v[4:5] offset0:18 offset1:27
	v_pk_fma_f32 v[4:5], v[10:11], s[8:9], v[28:29] op_sel_hi:[1,0,1]
	v_mov_b32_e32 v167, v25
	v_mov_b32_e32 v205, v27
	;; [unrolled: 1-line block ×4, first 2 shown]
	v_pk_fma_f32 v[210:211], v[10:11], s[8:9], v[210:211] op_sel_hi:[1,0,1]
	ds_write_b64 v19, v[4:5] offset:288
	v_pk_add_f32 v[4:5], v[166:167], v[204:205] neg_lo:[0,1] neg_hi:[0,1]
	v_pk_add_f32 v[10:11], v[36:37], v[20:21] neg_lo:[0,1] neg_hi:[0,1]
	ds_write2_b64 v19, v[208:209], v[210:211] offset1:9
	v_pk_add_f32 v[4:5], v[4:5], v[10:11]
	v_pk_add_f32 v[10:11], v[204:205], v[20:21]
	v_pk_add_f32 v[18:19], v[166:167], v[36:37] neg_lo:[0,1] neg_hi:[0,1]
	v_pk_fma_f32 v[10:11], v[10:11], 0.5, v[6:7] op_sel_hi:[1,0,1] neg_lo:[1,0,0] neg_hi:[1,0,0]
	v_pk_add_f32 v[24:25], v[204:205], v[20:21] neg_lo:[0,1] neg_hi:[0,1]
	v_pk_fma_f32 v[22:23], v[18:19], s[6:7], v[10:11] op_sel:[1,0,0] op_sel_hi:[0,0,1]
	v_pk_fma_f32 v[10:11], v[18:19], s[6:7], v[10:11] op_sel:[1,0,0] op_sel_hi:[0,0,1] neg_lo:[1,0,0] neg_hi:[1,0,0]
	v_pk_add_f32 v[26:27], v[6:7], v[166:167]
	v_pk_fma_f32 v[10:11], v[24:25], s[12:13], v[10:11] op_sel:[1,0,0] op_sel_hi:[0,0,1] neg_lo:[1,0,0] neg_hi:[1,0,0]
	v_pk_fma_f32 v[22:23], v[24:25], s[12:13], v[22:23] op_sel:[1,0,0] op_sel_hi:[0,0,1]
	v_pk_add_f32 v[26:27], v[26:27], v[204:205]
	v_mov_b32_e32 v29, v11
	v_pk_add_f32 v[26:27], v[26:27], v[20:21]
	v_mov_b32_e32 v11, v23
	v_pk_add_f32 v[26:27], v[26:27], v[36:37]
	v_pk_fma_f32 v[10:11], v[4:5], s[8:9], v[10:11] op_sel_hi:[1,0,1]
	ds_write2_b64 v177, v[26:27], v[10:11] offset1:9
	v_pk_add_f32 v[10:11], v[166:167], v[36:37]
	v_pk_add_f32 v[20:21], v[20:21], v[36:37] neg_lo:[0,1] neg_hi:[0,1]
	v_pk_fma_f32 v[6:7], v[10:11], 0.5, v[6:7] op_sel_hi:[1,0,1] neg_lo:[1,0,0] neg_hi:[1,0,0]
	v_pk_add_f32 v[10:11], v[204:205], v[166:167] neg_lo:[0,1] neg_hi:[0,1]
	v_mov_b32_e32 v28, v22
	v_pk_add_f32 v[10:11], v[10:11], v[20:21]
	v_pk_fma_f32 v[20:21], v[24:25], s[6:7], v[6:7] op_sel:[1,0,0] op_sel_hi:[0,0,1] neg_lo:[1,0,0] neg_hi:[1,0,0]
	v_pk_fma_f32 v[6:7], v[24:25], s[6:7], v[6:7] op_sel:[1,0,0] op_sel_hi:[0,0,1]
	v_pk_fma_f32 v[6:7], v[18:19], s[12:13], v[6:7] op_sel:[1,0,0] op_sel_hi:[0,0,1] neg_lo:[1,0,0] neg_hi:[1,0,0]
	v_pk_fma_f32 v[18:19], v[18:19], s[12:13], v[20:21] op_sel:[1,0,0] op_sel_hi:[0,0,1]
	v_mov_b32_e32 v20, v18
	v_mov_b32_e32 v21, v7
	;; [unrolled: 1-line block ×3, first 2 shown]
	v_pk_fma_f32 v[18:19], v[10:11], s[8:9], v[20:21] op_sel_hi:[1,0,1]
	v_pk_fma_f32 v[6:7], v[10:11], s[8:9], v[6:7] op_sel_hi:[1,0,1]
	;; [unrolled: 1-line block ×3, first 2 shown]
	v_mov_b32_e32 v169, v17
	v_mov_b32_e32 v51, v157
	ds_write2_b64 v177, v[6:7], v[18:19] offset0:18 offset1:27
	ds_write_b64 v177, v[4:5] offset:288
	v_pk_add_f32 v[4:5], v[168:169], v[50:51] neg_lo:[0,1] neg_hi:[0,1]
	v_pk_add_f32 v[6:7], v[0:1], v[2:3] neg_lo:[0,1] neg_hi:[0,1]
	;; [unrolled: 1-line block ×3, first 2 shown]
	v_pk_add_f32 v[4:5], v[4:5], v[6:7]
	v_pk_add_f32 v[6:7], v[50:51], v[2:3]
	v_pk_add_f32 v[14:15], v[50:51], v[2:3] neg_lo:[0,1] neg_hi:[0,1]
	v_pk_fma_f32 v[6:7], v[6:7], 0.5, v[8:9] op_sel_hi:[1,0,1] neg_lo:[1,0,0] neg_hi:[1,0,0]
	v_pk_add_f32 v[16:17], v[8:9], v[168:169]
	v_pk_fma_f32 v[12:13], v[10:11], s[6:7], v[6:7] op_sel:[1,0,0] op_sel_hi:[0,0,1]
	v_pk_fma_f32 v[6:7], v[10:11], s[6:7], v[6:7] op_sel:[1,0,0] op_sel_hi:[0,0,1] neg_lo:[1,0,0] neg_hi:[1,0,0]
	v_pk_fma_f32 v[6:7], v[14:15], s[12:13], v[6:7] op_sel:[1,0,0] op_sel_hi:[0,0,1] neg_lo:[1,0,0] neg_hi:[1,0,0]
	v_pk_fma_f32 v[12:13], v[14:15], s[12:13], v[12:13] op_sel:[1,0,0] op_sel_hi:[0,0,1]
	v_pk_add_f32 v[16:17], v[16:17], v[50:51]
	v_mov_b32_e32 v19, v7
	v_pk_add_f32 v[16:17], v[16:17], v[2:3]
	v_mov_b32_e32 v7, v13
	v_pk_add_f32 v[16:17], v[16:17], v[0:1]
	v_pk_fma_f32 v[6:7], v[4:5], s[8:9], v[6:7] op_sel_hi:[1,0,1]
	ds_write2_b64 v179, v[16:17], v[6:7] offset1:9
	v_pk_add_f32 v[6:7], v[168:169], v[0:1]
	v_pk_add_f32 v[0:1], v[2:3], v[0:1] neg_lo:[0,1] neg_hi:[0,1]
	v_pk_fma_f32 v[6:7], v[6:7], 0.5, v[8:9] op_sel_hi:[1,0,1] neg_lo:[1,0,0] neg_hi:[1,0,0]
	v_pk_add_f32 v[8:9], v[50:51], v[168:169] neg_lo:[0,1] neg_hi:[0,1]
	v_pk_fma_f32 v[2:3], v[14:15], s[6:7], v[6:7] op_sel:[1,0,0] op_sel_hi:[0,0,1] neg_lo:[1,0,0] neg_hi:[1,0,0]
	v_pk_fma_f32 v[6:7], v[14:15], s[6:7], v[6:7] op_sel:[1,0,0] op_sel_hi:[0,0,1]
	v_pk_fma_f32 v[6:7], v[10:11], s[12:13], v[6:7] op_sel:[1,0,0] op_sel_hi:[0,0,1] neg_lo:[1,0,0] neg_hi:[1,0,0]
	v_pk_fma_f32 v[2:3], v[10:11], s[12:13], v[2:3] op_sel:[1,0,0] op_sel_hi:[0,0,1]
	v_pk_add_f32 v[0:1], v[8:9], v[0:1]
	v_mov_b32_e32 v8, v2
	v_mov_b32_e32 v9, v7
	;; [unrolled: 1-line block ×3, first 2 shown]
	v_pk_fma_f32 v[2:3], v[0:1], s[8:9], v[8:9] op_sel_hi:[1,0,1]
	v_pk_fma_f32 v[0:1], v[0:1], s[8:9], v[6:7] op_sel_hi:[1,0,1]
	v_mov_b32_e32 v18, v12
	ds_write2_b64 v179, v[0:1], v[2:3] offset0:18 offset1:27
	v_pk_fma_f32 v[0:1], v[4:5], s[8:9], v[18:19] op_sel_hi:[1,0,1]
	ds_write_b64 v179, v[0:1] offset:288
	s_waitcnt lgkmcnt(0)
	s_barrier
	ds_read_b64 v[2:3], v108 offset:15120
	ds_read2_b64 v[4:7], v161 offset0:70 offset1:205
	s_waitcnt lgkmcnt(1)
	v_pk_mul_f32 v[8:9], v[198:199], v[2:3] op_sel_hi:[0,1]
	v_pk_fma_f32 v[0:1], v[62:63], v[2:3], v[8:9] op_sel:[0,0,1] op_sel_hi:[1,1,0]
	v_pk_fma_f32 v[12:13], v[62:63], v[2:3], v[8:9] op_sel:[0,0,1] op_sel_hi:[0,1,0] neg_lo:[0,0,1] neg_hi:[0,0,1]
	ds_read2_b64 v[8:11], v159 offset0:84 offset1:219
	s_waitcnt lgkmcnt(1)
	v_pk_mul_f32 v[14:15], v[60:61], v[6:7] op_sel:[1,0]
	v_mov_b32_e32 v1, v13
	v_pk_fma_f32 v[2:3], v[60:61], v[6:7], v[14:15] op_sel:[0,0,1] op_sel_hi:[1,1,0]
	v_pk_fma_f32 v[14:15], v[60:61], v[6:7], v[14:15] op_sel:[0,0,1] op_sel_hi:[0,1,0] neg_lo:[0,0,1] neg_hi:[0,0,1]
	v_pk_mul_f32 v[6:7], v[56:57], v[4:5] op_sel:[1,0]
	s_waitcnt lgkmcnt(0)
	v_pk_mul_f32 v[20:21], v[178:179], v[10:11] op_sel_hi:[0,1]
	v_pk_fma_f32 v[16:17], v[56:57], v[4:5], v[6:7] op_sel:[0,0,1] op_sel_hi:[1,1,0]
	v_pk_fma_f32 v[18:19], v[56:57], v[4:5], v[6:7] op_sel:[0,0,1] op_sel_hi:[0,1,0] neg_lo:[0,0,1] neg_hi:[0,0,1]
	ds_read2_b64 v[4:7], v151 offset0:56 offset1:191
	v_pk_fma_f32 v[22:23], v[58:59], v[10:11], v[20:21] op_sel:[0,0,1] op_sel_hi:[1,1,0]
	v_pk_fma_f32 v[20:21], v[58:59], v[10:11], v[20:21] op_sel:[0,0,1] op_sel_hi:[0,1,0] neg_lo:[0,0,1] neg_hi:[0,0,1]
	v_pk_mul_f32 v[10:11], v[176:177], v[8:9] op_sel_hi:[0,1]
	v_pk_fma_f32 v[24:25], v[66:67], v[8:9], v[10:11] op_sel:[0,0,1] op_sel_hi:[1,1,0]
	v_pk_fma_f32 v[26:27], v[66:67], v[8:9], v[10:11] op_sel:[0,0,1] op_sel_hi:[0,1,0] neg_lo:[0,0,1] neg_hi:[0,0,1]
	ds_read2_b64 v[8:11], v165 offset0:28 offset1:163
	s_waitcnt lgkmcnt(1)
	v_pk_mul_f32 v[28:29], v[64:65], v[6:7] op_sel:[1,0]
	v_mov_b32_e32 v25, v27
	v_pk_fma_f32 v[30:31], v[64:65], v[6:7], v[28:29] op_sel:[0,0,1] op_sel_hi:[1,1,0]
	v_pk_fma_f32 v[28:29], v[64:65], v[6:7], v[28:29] op_sel:[0,0,1] op_sel_hi:[0,1,0] neg_lo:[0,0,1] neg_hi:[0,0,1]
	v_pk_mul_f32 v[6:7], v[174:175], v[4:5] op_sel_hi:[0,1]
	v_pk_fma_f32 v[32:33], v[46:47], v[4:5], v[6:7] op_sel:[0,0,1] op_sel_hi:[1,1,0]
	v_pk_fma_f32 v[34:35], v[46:47], v[4:5], v[6:7] op_sel:[0,0,1] op_sel_hi:[0,1,0] neg_lo:[0,0,1] neg_hi:[0,0,1]
	s_waitcnt lgkmcnt(0)
	v_pk_mul_f32 v[36:37], v[44:45], v[10:11] op_sel:[1,0]
	ds_read2_b64 v[4:7], v155 offset0:42 offset1:177
	v_pk_fma_f32 v[38:39], v[44:45], v[10:11], v[36:37] op_sel:[0,0,1] op_sel_hi:[1,1,0]
	v_pk_fma_f32 v[36:37], v[44:45], v[10:11], v[36:37] op_sel:[0,0,1] op_sel_hi:[0,1,0] neg_lo:[0,0,1] neg_hi:[0,0,1]
	v_pk_mul_f32 v[10:11], v[40:41], v[8:9] op_sel:[1,0]
	v_mov_b32_e32 v31, v29
	v_pk_fma_f32 v[44:45], v[40:41], v[8:9], v[10:11] op_sel:[0,0,1] op_sel_hi:[1,1,0]
	v_pk_fma_f32 v[40:41], v[40:41], v[8:9], v[10:11] op_sel:[0,0,1] op_sel_hi:[0,1,0] neg_lo:[0,0,1] neg_hi:[0,0,1]
	ds_read2_b64 v[8:11], v153 offset0:14 offset1:149
	s_waitcnt lgkmcnt(1)
	v_pk_mul_f32 v[48:49], v[172:173], v[6:7] op_sel_hi:[0,1]
	v_pk_fma_f32 v[50:51], v[42:43], v[6:7], v[48:49] op_sel:[0,0,1] op_sel_hi:[1,1,0]
	v_pk_fma_f32 v[48:49], v[42:43], v[6:7], v[48:49] op_sel:[0,0,1] op_sel_hi:[0,1,0] neg_lo:[0,0,1] neg_hi:[0,0,1]
	v_pk_mul_f32 v[6:7], v[170:171], v[4:5] op_sel_hi:[0,1]
	v_pk_fma_f32 v[56:57], v[54:55], v[4:5], v[6:7] op_sel:[0,0,1] op_sel_hi:[1,1,0]
	v_pk_fma_f32 v[4:5], v[54:55], v[4:5], v[6:7] op_sel:[0,0,1] op_sel_hi:[0,1,0] neg_lo:[0,0,1] neg_hi:[0,0,1]
	s_waitcnt lgkmcnt(0)
	v_pk_mul_f32 v[6:7], v[52:53], v[10:11] op_sel:[1,0]
	v_mov_b32_e32 v57, v5
	v_pk_fma_f32 v[60:61], v[52:53], v[10:11], v[6:7] op_sel:[0,0,1] op_sel_hi:[1,1,0]
	v_pk_fma_f32 v[6:7], v[52:53], v[10:11], v[6:7] op_sel:[0,0,1] op_sel_hi:[0,1,0] neg_lo:[0,0,1] neg_hi:[0,0,1]
	v_mov_b32_e32 v61, v7
	ds_read2_b64 v[4:7], v108 offset1:135
	v_pk_add_f32 v[10:11], v[60:61], v[56:57] neg_lo:[0,1] neg_hi:[0,1]
	v_pk_add_f32 v[26:27], v[24:25], v[30:31] neg_lo:[0,1] neg_hi:[0,1]
	;; [unrolled: 1-line block ×3, first 2 shown]
	v_pk_add_f32 v[10:11], v[10:11], v[26:27]
	v_pk_add_f32 v[26:27], v[56:57], v[30:31]
	v_pk_mul_f32 v[52:53], v[28:29], s[6:7] op_sel_hi:[1,0]
	s_waitcnt lgkmcnt(0)
	v_pk_fma_f32 v[26:27], v[26:27], 0.5, v[4:5] op_sel_hi:[1,0,1] neg_lo:[1,0,0] neg_hi:[1,0,0]
	v_pk_mul_f32 v[28:29], v[28:29], s[12:13] op_sel_hi:[1,0]
	v_pk_add_f32 v[64:65], v[26:27], v[52:53] op_sel:[0,1] op_sel_hi:[1,0] neg_lo:[0,1] neg_hi:[0,1]
	v_pk_add_f32 v[26:27], v[26:27], v[52:53] op_sel:[0,1] op_sel_hi:[1,0]
	v_pk_add_f32 v[52:53], v[56:57], v[30:31] neg_lo:[0,1] neg_hi:[0,1]
	s_nop 0
	v_pk_mul_f32 v[146:147], v[52:53], s[12:13] op_sel_hi:[1,0]
	s_barrier
	v_pk_add_f32 v[26:27], v[26:27], v[146:147] op_sel:[0,1] op_sel_hi:[1,0]
	v_pk_add_f32 v[64:65], v[64:65], v[146:147] op_sel:[0,1] op_sel_hi:[1,0] neg_lo:[0,1] neg_hi:[0,1]
	v_pk_add_f32 v[146:147], v[4:5], v[60:61]
	v_mov_b32_e32 v157, v27
	v_pk_add_f32 v[146:147], v[146:147], v[56:57]
	v_pk_add_f32 v[56:57], v[56:57], v[60:61] neg_lo:[0,1] neg_hi:[0,1]
	v_pk_add_f32 v[146:147], v[146:147], v[30:31]
	v_pk_add_f32 v[60:61], v[60:61], v[24:25]
	;; [unrolled: 1-line block ×3, first 2 shown]
	v_pk_add_f32 v[24:25], v[30:31], v[24:25] neg_lo:[0,1] neg_hi:[0,1]
	v_pk_fma_f32 v[4:5], v[60:61], 0.5, v[4:5] op_sel_hi:[1,0,1] neg_lo:[1,0,0] neg_hi:[1,0,0]
	v_pk_mul_f32 v[30:31], v[52:53], s[6:7] op_sel_hi:[1,0]
	v_pk_add_f32 v[24:25], v[56:57], v[24:25]
	v_pk_add_f32 v[52:53], v[4:5], v[30:31] op_sel:[0,1] op_sel_hi:[1,0]
	v_pk_add_f32 v[4:5], v[4:5], v[30:31] op_sel:[0,1] op_sel_hi:[1,0] neg_lo:[0,1] neg_hi:[0,1]
	v_mov_b32_e32 v27, v65
	v_pk_add_f32 v[4:5], v[4:5], v[28:29] op_sel:[0,1] op_sel_hi:[1,0]
	v_pk_add_f32 v[28:29], v[52:53], v[28:29] op_sel:[0,1] op_sel_hi:[1,0] neg_lo:[0,1] neg_hi:[0,1]
	v_mov_b32_e32 v31, v5
	v_mov_b32_e32 v30, v28
	;; [unrolled: 1-line block ×3, first 2 shown]
	v_pk_fma_f32 v[28:29], v[24:25], s[8:9], v[30:31] op_sel_hi:[1,0,1]
	v_pk_fma_f32 v[4:5], v[24:25], s[8:9], v[4:5] op_sel_hi:[1,0,1]
	v_mov_b32_e32 v156, v64
	ds_write2_b64 v43, v[28:29], v[4:5] offset0:90 offset1:135
	v_pk_fma_f32 v[4:5], v[10:11], s[8:9], v[26:27] op_sel_hi:[1,0,1]
	v_mov_b32_e32 v45, v41
	v_mov_b32_e32 v51, v49
	;; [unrolled: 1-line block ×4, first 2 shown]
	v_pk_fma_f32 v[156:157], v[10:11], s[8:9], v[156:157] op_sel_hi:[1,0,1]
	ds_write_b64 v43, v[4:5] offset:1440
	v_pk_add_f32 v[4:5], v[44:45], v[50:51] neg_lo:[0,1] neg_hi:[0,1]
	v_pk_add_f32 v[10:11], v[22:23], v[16:17] neg_lo:[0,1] neg_hi:[0,1]
	v_pk_add_f32 v[18:19], v[44:45], v[22:23] neg_lo:[0,1] neg_hi:[0,1]
	v_pk_add_f32 v[4:5], v[4:5], v[10:11]
	v_pk_add_f32 v[10:11], v[50:51], v[16:17]
	v_pk_add_f32 v[24:25], v[50:51], v[16:17] neg_lo:[0,1] neg_hi:[0,1]
	v_pk_fma_f32 v[10:11], v[10:11], 0.5, v[6:7] op_sel_hi:[1,0,1] neg_lo:[1,0,0] neg_hi:[1,0,0]
	v_pk_add_f32 v[26:27], v[6:7], v[44:45]
	v_pk_fma_f32 v[20:21], v[18:19], s[6:7], v[10:11] op_sel:[1,0,0] op_sel_hi:[0,0,1]
	v_pk_fma_f32 v[10:11], v[18:19], s[6:7], v[10:11] op_sel:[1,0,0] op_sel_hi:[0,0,1] neg_lo:[1,0,0] neg_hi:[1,0,0]
	v_pk_fma_f32 v[10:11], v[24:25], s[12:13], v[10:11] op_sel:[1,0,0] op_sel_hi:[0,0,1] neg_lo:[1,0,0] neg_hi:[1,0,0]
	v_pk_fma_f32 v[20:21], v[24:25], s[12:13], v[20:21] op_sel:[1,0,0] op_sel_hi:[0,0,1]
	v_pk_add_f32 v[26:27], v[26:27], v[50:51]
	v_mov_b32_e32 v29, v11
	v_pk_add_f32 v[26:27], v[26:27], v[16:17]
	v_mov_b32_e32 v11, v21
	v_pk_add_f32 v[26:27], v[26:27], v[22:23]
	v_pk_fma_f32 v[10:11], v[4:5], s[8:9], v[10:11] op_sel_hi:[1,0,1]
	ds_write2_b64 v43, v[146:147], v[156:157] offset1:45
	ds_write2_b64 v47, v[26:27], v[10:11] offset1:45
	v_pk_add_f32 v[10:11], v[44:45], v[22:23]
	v_pk_add_f32 v[16:17], v[16:17], v[22:23] neg_lo:[0,1] neg_hi:[0,1]
	v_pk_fma_f32 v[6:7], v[10:11], 0.5, v[6:7] op_sel_hi:[1,0,1] neg_lo:[1,0,0] neg_hi:[1,0,0]
	v_pk_add_f32 v[10:11], v[50:51], v[44:45] neg_lo:[0,1] neg_hi:[0,1]
	v_mov_b32_e32 v28, v20
	v_pk_add_f32 v[10:11], v[10:11], v[16:17]
	v_pk_fma_f32 v[16:17], v[24:25], s[6:7], v[6:7] op_sel:[1,0,0] op_sel_hi:[0,0,1] neg_lo:[1,0,0] neg_hi:[1,0,0]
	v_pk_fma_f32 v[6:7], v[24:25], s[6:7], v[6:7] op_sel:[1,0,0] op_sel_hi:[0,0,1]
	v_pk_fma_f32 v[6:7], v[18:19], s[12:13], v[6:7] op_sel:[1,0,0] op_sel_hi:[0,0,1] neg_lo:[1,0,0] neg_hi:[1,0,0]
	v_pk_fma_f32 v[16:17], v[18:19], s[12:13], v[16:17] op_sel:[1,0,0] op_sel_hi:[0,0,1]
	v_mov_b32_e32 v18, v16
	v_mov_b32_e32 v19, v7
	;; [unrolled: 1-line block ×3, first 2 shown]
	v_pk_fma_f32 v[16:17], v[10:11], s[8:9], v[18:19] op_sel_hi:[1,0,1]
	v_pk_fma_f32 v[6:7], v[10:11], s[8:9], v[6:7] op_sel_hi:[1,0,1]
	;; [unrolled: 1-line block ×3, first 2 shown]
	v_mov_b32_e32 v39, v37
	v_mov_b32_e32 v33, v35
	;; [unrolled: 1-line block ×3, first 2 shown]
	ds_write2_b64 v47, v[6:7], v[16:17] offset0:90 offset1:135
	ds_write_b64 v47, v[4:5] offset:1440
	v_pk_add_f32 v[4:5], v[38:39], v[32:33] neg_lo:[0,1] neg_hi:[0,1]
	v_pk_add_f32 v[6:7], v[0:1], v[2:3] neg_lo:[0,1] neg_hi:[0,1]
	;; [unrolled: 1-line block ×3, first 2 shown]
	v_pk_add_f32 v[4:5], v[4:5], v[6:7]
	v_pk_add_f32 v[6:7], v[32:33], v[2:3]
	v_pk_add_f32 v[14:15], v[32:33], v[2:3] neg_lo:[0,1] neg_hi:[0,1]
	v_pk_fma_f32 v[6:7], v[6:7], 0.5, v[8:9] op_sel_hi:[1,0,1] neg_lo:[1,0,0] neg_hi:[1,0,0]
	v_pk_add_f32 v[16:17], v[8:9], v[38:39]
	v_pk_fma_f32 v[12:13], v[10:11], s[6:7], v[6:7] op_sel:[1,0,0] op_sel_hi:[0,0,1]
	v_pk_fma_f32 v[6:7], v[10:11], s[6:7], v[6:7] op_sel:[1,0,0] op_sel_hi:[0,0,1] neg_lo:[1,0,0] neg_hi:[1,0,0]
	v_pk_fma_f32 v[6:7], v[14:15], s[12:13], v[6:7] op_sel:[1,0,0] op_sel_hi:[0,0,1] neg_lo:[1,0,0] neg_hi:[1,0,0]
	v_pk_fma_f32 v[12:13], v[14:15], s[12:13], v[12:13] op_sel:[1,0,0] op_sel_hi:[0,0,1]
	v_pk_add_f32 v[16:17], v[16:17], v[32:33]
	v_mov_b32_e32 v19, v7
	v_pk_add_f32 v[16:17], v[16:17], v[2:3]
	v_mov_b32_e32 v7, v13
	v_pk_add_f32 v[16:17], v[16:17], v[0:1]
	v_pk_fma_f32 v[6:7], v[4:5], s[8:9], v[6:7] op_sel_hi:[1,0,1]
	ds_write2_b64 v55, v[16:17], v[6:7] offset1:45
	v_pk_add_f32 v[6:7], v[38:39], v[0:1]
	v_pk_add_f32 v[0:1], v[2:3], v[0:1] neg_lo:[0,1] neg_hi:[0,1]
	v_pk_fma_f32 v[6:7], v[6:7], 0.5, v[8:9] op_sel_hi:[1,0,1] neg_lo:[1,0,0] neg_hi:[1,0,0]
	v_pk_add_f32 v[8:9], v[32:33], v[38:39] neg_lo:[0,1] neg_hi:[0,1]
	v_pk_fma_f32 v[2:3], v[14:15], s[6:7], v[6:7] op_sel:[1,0,0] op_sel_hi:[0,0,1] neg_lo:[1,0,0] neg_hi:[1,0,0]
	v_pk_fma_f32 v[6:7], v[14:15], s[6:7], v[6:7] op_sel:[1,0,0] op_sel_hi:[0,0,1]
	v_pk_fma_f32 v[6:7], v[10:11], s[12:13], v[6:7] op_sel:[1,0,0] op_sel_hi:[0,0,1] neg_lo:[1,0,0] neg_hi:[1,0,0]
	v_pk_fma_f32 v[2:3], v[10:11], s[12:13], v[2:3] op_sel:[1,0,0] op_sel_hi:[0,0,1]
	v_pk_add_f32 v[0:1], v[8:9], v[0:1]
	v_mov_b32_e32 v8, v2
	v_mov_b32_e32 v9, v7
	;; [unrolled: 1-line block ×3, first 2 shown]
	v_pk_fma_f32 v[2:3], v[0:1], s[8:9], v[8:9] op_sel_hi:[1,0,1]
	v_pk_fma_f32 v[0:1], v[0:1], s[8:9], v[6:7] op_sel_hi:[1,0,1]
	v_mov_b32_e32 v18, v12
	ds_write2_b64 v55, v[0:1], v[2:3] offset0:90 offset1:135
	v_pk_fma_f32 v[0:1], v[4:5], s[8:9], v[18:19] op_sel_hi:[1,0,1]
	ds_write_b64 v55, v[0:1] offset:1440
	s_waitcnt lgkmcnt(0)
	s_barrier
	ds_read_b64 v[4:5], v108 offset:15120
	ds_read2_b64 v[0:3], v151 offset0:56 offset1:191
	s_waitcnt lgkmcnt(1)
	v_pk_mul_f32 v[6:7], v[200:201], v[4:5] op_sel_hi:[0,1]
	v_pk_fma_f32 v[8:9], v[70:71], v[4:5], v[6:7] op_sel:[0,0,1] op_sel_hi:[1,1,0]
	v_pk_fma_f32 v[10:11], v[70:71], v[4:5], v[6:7] op_sel:[0,0,1] op_sel_hi:[0,1,0] neg_lo:[0,0,1] neg_hi:[0,0,1]
	ds_read2_b64 v[4:7], v159 offset0:84 offset1:219
	s_waitcnt lgkmcnt(1)
	v_pk_mul_f32 v[12:13], v[68:69], v[2:3] op_sel:[1,0]
	v_mov_b32_e32 v9, v11
	v_pk_fma_f32 v[14:15], v[68:69], v[2:3], v[12:13] op_sel:[0,0,1] op_sel_hi:[1,1,0]
	v_pk_fma_f32 v[12:13], v[68:69], v[2:3], v[12:13] op_sel:[0,0,1] op_sel_hi:[0,1,0] neg_lo:[0,0,1] neg_hi:[0,0,1]
	v_pk_mul_f32 v[2:3], v[72:73], v[0:1] op_sel:[1,0]
	s_waitcnt lgkmcnt(0)
	v_pk_mul_f32 v[20:21], v[188:189], v[6:7] op_sel_hi:[0,1]
	v_pk_fma_f32 v[16:17], v[72:73], v[0:1], v[2:3] op_sel:[0,0,1] op_sel_hi:[1,1,0]
	v_pk_fma_f32 v[18:19], v[72:73], v[0:1], v[2:3] op_sel:[0,0,1] op_sel_hi:[0,1,0] neg_lo:[0,0,1] neg_hi:[0,0,1]
	ds_read2_b64 v[0:3], v155 offset0:42 offset1:177
	v_pk_fma_f32 v[22:23], v[74:75], v[6:7], v[20:21] op_sel:[0,0,1] op_sel_hi:[1,1,0]
	v_pk_fma_f32 v[20:21], v[74:75], v[6:7], v[20:21] op_sel:[0,0,1] op_sel_hi:[0,1,0] neg_lo:[0,0,1] neg_hi:[0,0,1]
	v_pk_mul_f32 v[6:7], v[184:185], v[4:5] op_sel_hi:[0,1]
	v_pk_fma_f32 v[24:25], v[82:83], v[4:5], v[6:7] op_sel:[0,0,1] op_sel_hi:[1,1,0]
	v_pk_fma_f32 v[26:27], v[82:83], v[4:5], v[6:7] op_sel:[0,0,1] op_sel_hi:[0,1,0] neg_lo:[0,0,1] neg_hi:[0,0,1]
	ds_read2_b64 v[4:7], v161 offset0:70 offset1:205
	s_waitcnt lgkmcnt(1)
	v_pk_mul_f32 v[28:29], v[80:81], v[2:3] op_sel:[1,0]
	v_mov_b32_e32 v25, v27
	v_pk_fma_f32 v[30:31], v[80:81], v[2:3], v[28:29] op_sel:[0,0,1] op_sel_hi:[1,1,0]
	v_pk_fma_f32 v[28:29], v[80:81], v[2:3], v[28:29] op_sel:[0,0,1] op_sel_hi:[0,1,0] neg_lo:[0,0,1] neg_hi:[0,0,1]
	v_pk_mul_f32 v[2:3], v[84:85], v[0:1] op_sel:[1,0]
	s_waitcnt lgkmcnt(0)
	v_pk_mul_f32 v[36:37], v[182:183], v[6:7] op_sel_hi:[0,1]
	v_pk_fma_f32 v[32:33], v[84:85], v[0:1], v[2:3] op_sel:[0,0,1] op_sel_hi:[1,1,0]
	v_pk_fma_f32 v[34:35], v[84:85], v[0:1], v[2:3] op_sel:[0,0,1] op_sel_hi:[0,1,0] neg_lo:[0,0,1] neg_hi:[0,0,1]
	ds_read2_b64 v[0:3], v165 offset0:28 offset1:163
	v_pk_fma_f32 v[38:39], v[86:87], v[6:7], v[36:37] op_sel:[0,0,1] op_sel_hi:[1,1,0]
	v_pk_fma_f32 v[36:37], v[86:87], v[6:7], v[36:37] op_sel:[0,0,1] op_sel_hi:[0,1,0] neg_lo:[0,0,1] neg_hi:[0,0,1]
	v_pk_mul_f32 v[6:7], v[180:181], v[4:5] op_sel_hi:[0,1]
	v_pk_fma_f32 v[40:41], v[90:91], v[4:5], v[6:7] op_sel:[0,0,1] op_sel_hi:[1,1,0]
	v_pk_fma_f32 v[42:43], v[90:91], v[4:5], v[6:7] op_sel:[0,0,1] op_sel_hi:[0,1,0] neg_lo:[0,0,1] neg_hi:[0,0,1]
	ds_read2_b64 v[4:7], v108 offset1:135
	s_waitcnt lgkmcnt(1)
	v_pk_mul_f32 v[44:45], v[88:89], v[2:3] op_sel:[1,0]
	v_mov_b32_e32 v41, v43
	v_pk_fma_f32 v[46:47], v[88:89], v[2:3], v[44:45] op_sel:[0,0,1] op_sel_hi:[1,1,0]
	v_pk_fma_f32 v[2:3], v[88:89], v[2:3], v[44:45] op_sel:[0,0,1] op_sel_hi:[0,1,0] neg_lo:[0,0,1] neg_hi:[0,0,1]
	v_mov_b32_e32 v47, v3
	s_waitcnt lgkmcnt(0)
	v_pk_add_f32 v[2:3], v[4:5], v[46:47]
	v_mov_b32_e32 v33, v35
	v_pk_add_f32 v[42:43], v[2:3], v[40:41]
	v_pk_add_f32 v[2:3], v[46:47], v[40:41]
	v_pk_add_f32 v[40:41], v[46:47], v[40:41] neg_lo:[0,1] neg_hi:[0,1]
	v_mov_b32_e32 v39, v37
	v_pk_fma_f32 v[2:3], v[2:3], 0.5, v[4:5] op_sel_hi:[1,0,1] neg_lo:[1,0,0] neg_hi:[1,0,0]
	v_pk_mul_f32 v[4:5], v[40:41], s[2:3] op_sel_hi:[1,0]
	v_pk_add_f32 v[34:35], v[32:33], v[38:39]
	v_pk_add_f32 v[40:41], v[2:3], v[4:5] op_sel:[0,1] op_sel_hi:[1,0]
	v_pk_add_f32 v[44:45], v[2:3], v[4:5] op_sel:[0,1] op_sel_hi:[1,0] neg_lo:[0,1] neg_hi:[0,1]
	ds_read2_b64 v[2:5], v153 offset0:14 offset1:149
	v_pk_fma_f32 v[34:35], v[34:35], 0.5, v[6:7] op_sel_hi:[1,0,1] neg_lo:[1,0,0] neg_hi:[1,0,0]
	v_pk_add_f32 v[6:7], v[6:7], v[32:33]
	v_pk_add_f32 v[32:33], v[32:33], v[38:39] neg_lo:[0,1] neg_hi:[0,1]
	v_mov_b32_e32 v46, v44
	v_pk_mul_f32 v[32:33], v[32:33], s[2:3] op_sel_hi:[1,0]
	v_mov_b32_e32 v47, v41
	v_pk_add_f32 v[36:37], v[34:35], v[32:33] op_sel:[0,1] op_sel_hi:[1,0] neg_lo:[0,1] neg_hi:[0,1]
	v_pk_add_f32 v[32:33], v[34:35], v[32:33] op_sel:[0,1] op_sel_hi:[1,0]
	v_mov_b32_e32 v41, v45
	v_pk_add_f32 v[6:7], v[6:7], v[38:39]
	v_mov_b32_e32 v34, v36
	v_mov_b32_e32 v35, v33
	v_mov_b32_e32 v31, v29
	s_waitcnt lgkmcnt(0)
	s_barrier
	ds_write2_b64 v108, v[42:43], v[46:47] offset1:225
	ds_write_b64 v108, v[40:41] offset:3600
	ds_write2_b64 v59, v[6:7], v[34:35] offset1:225
	v_pk_add_f32 v[6:7], v[30:31], v[24:25]
	v_pk_add_f32 v[26:27], v[30:31], v[24:25] neg_lo:[0,1] neg_hi:[0,1]
	v_pk_fma_f32 v[6:7], v[6:7], 0.5, v[2:3] op_sel_hi:[1,0,1] neg_lo:[1,0,0] neg_hi:[1,0,0]
	v_pk_mul_f32 v[26:27], v[26:27], s[2:3] op_sel_hi:[1,0]
	v_pk_add_f32 v[2:3], v[2:3], v[30:31]
	v_pk_add_f32 v[28:29], v[6:7], v[26:27] op_sel:[0,1] op_sel_hi:[1,0]
	v_pk_add_f32 v[6:7], v[6:7], v[26:27] op_sel:[0,1] op_sel_hi:[1,0] neg_lo:[0,1] neg_hi:[0,1]
	v_mov_b32_e32 v33, v37
	v_pk_add_f32 v[2:3], v[2:3], v[24:25]
	v_mov_b32_e32 v24, v6
	v_mov_b32_e32 v25, v29
	;; [unrolled: 1-line block ×4, first 2 shown]
	ds_write_b64 v59, v[32:33] offset:3600
	ds_write2_b64 v67, v[2:3], v[24:25] offset0:16 offset1:241
	v_pk_add_f32 v[2:3], v[16:17], v[22:23]
	v_mov_b32_e32 v29, v7
	v_pk_fma_f32 v[2:3], v[2:3], 0.5, v[4:5] op_sel_hi:[1,0,1] neg_lo:[1,0,0] neg_hi:[1,0,0]
	v_pk_add_f32 v[4:5], v[4:5], v[16:17]
	v_pk_add_f32 v[16:17], v[16:17], v[22:23] neg_lo:[0,1] neg_hi:[0,1]
	v_pk_add_f32 v[4:5], v[4:5], v[22:23]
	v_pk_mul_f32 v[16:17], v[16:17], s[2:3] op_sel_hi:[1,0]
	v_mov_b32_e32 v15, v13
	v_pk_add_f32 v[18:19], v[2:3], v[16:17] op_sel:[0,1] op_sel_hi:[1,0]
	v_pk_add_f32 v[2:3], v[2:3], v[16:17] op_sel:[0,1] op_sel_hi:[1,0] neg_lo:[0,1] neg_hi:[0,1]
	v_mov_b32_e32 v7, v19
	v_mov_b32_e32 v6, v2
	ds_write_b64 v108, v[28:29] offset:9360
	ds_write2_b64 v63, v[4:5], v[6:7] offset1:225
	v_mov_b32_e32 v19, v3
	v_pk_add_f32 v[2:3], v[14:15], v[8:9]
	v_pk_add_f32 v[4:5], v[14:15], v[8:9] neg_lo:[0,1] neg_hi:[0,1]
	v_pk_fma_f32 v[2:3], v[2:3], 0.5, v[0:1] op_sel_hi:[1,0,1] neg_lo:[1,0,0] neg_hi:[1,0,0]
	v_pk_mul_f32 v[4:5], v[4:5], s[2:3] op_sel_hi:[1,0]
	v_pk_add_f32 v[0:1], v[0:1], v[14:15]
	v_pk_add_f32 v[6:7], v[2:3], v[4:5] op_sel:[0,1] op_sel_hi:[1,0]
	v_pk_add_f32 v[2:3], v[2:3], v[4:5] op_sel:[0,1] op_sel_hi:[1,0] neg_lo:[0,1] neg_hi:[0,1]
	v_pk_add_f32 v[0:1], v[0:1], v[8:9]
	v_mov_b32_e32 v4, v2
	v_mov_b32_e32 v5, v7
	;; [unrolled: 1-line block ×3, first 2 shown]
	ds_write_b64 v63, v[18:19] offset:3600
	ds_write2_b64 v75, v[0:1], v[4:5] offset0:6 offset1:231
	ds_write_b64 v71, v[6:7] offset:14400
	s_waitcnt lgkmcnt(0)
	s_barrier
	ds_read_b64 v[4:5], v108 offset:15120
	ds_read2_b64 v[0:3], v151 offset0:56 offset1:191
	s_waitcnt lgkmcnt(1)
	v_pk_mul_f32 v[6:7], v[202:203], v[4:5] op_sel_hi:[0,1]
	v_pk_fma_f32 v[10:11], v[106:107], v[4:5], v[6:7] op_sel:[0,0,1] op_sel_hi:[1,1,0]
	v_pk_fma_f32 v[12:13], v[106:107], v[4:5], v[6:7] op_sel:[0,0,1] op_sel_hi:[0,1,0] neg_lo:[0,0,1] neg_hi:[0,0,1]
	s_waitcnt lgkmcnt(0)
	v_pk_mul_f32 v[8:9], v[104:105], v[2:3] op_sel:[1,0]
	ds_read2_b64 v[4:7], v159 offset0:84 offset1:219
	v_pk_fma_f32 v[14:15], v[104:105], v[2:3], v[8:9] op_sel:[0,0,1] op_sel_hi:[1,1,0]
	v_pk_fma_f32 v[16:17], v[104:105], v[2:3], v[8:9] op_sel:[0,0,1] op_sel_hi:[0,1,0] neg_lo:[0,0,1] neg_hi:[0,0,1]
	v_pk_mul_f32 v[2:3], v[100:101], v[0:1] op_sel:[1,0]
	v_mov_b32_e32 v15, v17
	v_pk_fma_f32 v[18:19], v[100:101], v[0:1], v[2:3] op_sel:[0,0,1] op_sel_hi:[1,1,0]
	v_pk_fma_f32 v[20:21], v[100:101], v[0:1], v[2:3] op_sel:[0,0,1] op_sel_hi:[0,1,0] neg_lo:[0,0,1] neg_hi:[0,0,1]
	ds_read2_b64 v[0:3], v155 offset0:42 offset1:177
	s_waitcnt lgkmcnt(1)
	v_pk_mul_f32 v[8:9], v[196:197], v[6:7] op_sel_hi:[0,1]
	v_pk_fma_f32 v[22:23], v[102:103], v[6:7], v[8:9] op_sel:[0,0,1] op_sel_hi:[1,1,0]
	v_pk_fma_f32 v[24:25], v[102:103], v[6:7], v[8:9] op_sel:[0,0,1] op_sel_hi:[0,1,0] neg_lo:[0,0,1] neg_hi:[0,0,1]
	v_pk_mul_f32 v[6:7], v[194:195], v[4:5] op_sel_hi:[0,1]
	v_pk_fma_f32 v[26:27], v[98:99], v[4:5], v[6:7] op_sel:[0,0,1] op_sel_hi:[1,1,0]
	v_pk_fma_f32 v[28:29], v[98:99], v[4:5], v[6:7] op_sel:[0,0,1] op_sel_hi:[0,1,0] neg_lo:[0,0,1] neg_hi:[0,0,1]
	s_waitcnt lgkmcnt(0)
	v_pk_mul_f32 v[8:9], v[96:97], v[2:3] op_sel:[1,0]
	ds_read2_b64 v[4:7], v161 offset0:70 offset1:205
	v_pk_fma_f32 v[30:31], v[96:97], v[2:3], v[8:9] op_sel:[0,0,1] op_sel_hi:[1,1,0]
	v_pk_fma_f32 v[32:33], v[96:97], v[2:3], v[8:9] op_sel:[0,0,1] op_sel_hi:[0,1,0] neg_lo:[0,0,1] neg_hi:[0,0,1]
	v_pk_mul_f32 v[2:3], v[92:93], v[0:1] op_sel:[1,0]
	v_mov_b32_e32 v31, v33
	v_pk_fma_f32 v[34:35], v[92:93], v[0:1], v[2:3] op_sel:[0,0,1] op_sel_hi:[1,1,0]
	v_pk_fma_f32 v[8:9], v[92:93], v[0:1], v[2:3] op_sel:[0,0,1] op_sel_hi:[0,1,0] neg_lo:[0,0,1] neg_hi:[0,0,1]
	ds_read2_b64 v[0:3], v165 offset0:28 offset1:163
	s_waitcnt lgkmcnt(1)
	v_pk_mul_f32 v[36:37], v[192:193], v[6:7] op_sel_hi:[0,1]
	v_pk_fma_f32 v[38:39], v[94:95], v[6:7], v[36:37] op_sel:[0,0,1] op_sel_hi:[1,1,0]
	v_pk_fma_f32 v[6:7], v[94:95], v[6:7], v[36:37] op_sel:[0,0,1] op_sel_hi:[0,1,0] neg_lo:[0,0,1] neg_hi:[0,0,1]
	v_pk_mul_f32 v[36:37], v[190:191], v[4:5] op_sel_hi:[0,1]
	v_pk_fma_f32 v[40:41], v[78:79], v[4:5], v[36:37] op_sel:[0,0,1] op_sel_hi:[1,1,0]
	v_pk_fma_f32 v[36:37], v[78:79], v[4:5], v[36:37] op_sel:[0,0,1] op_sel_hi:[0,1,0] neg_lo:[0,0,1] neg_hi:[0,0,1]
	s_waitcnt lgkmcnt(0)
	v_pk_mul_f32 v[4:5], v[76:77], v[2:3] op_sel:[1,0]
	v_mov_b32_e32 v41, v37
	v_pk_fma_f32 v[42:43], v[76:77], v[2:3], v[4:5] op_sel:[0,0,1] op_sel_hi:[1,1,0]
	v_pk_fma_f32 v[44:45], v[76:77], v[2:3], v[4:5] op_sel:[0,0,1] op_sel_hi:[0,1,0] neg_lo:[0,0,1] neg_hi:[0,0,1]
	ds_read2_b64 v[2:5], v108 offset1:135
	v_mov_b32_e32 v43, v45
	v_mov_b32_e32 v39, v7
	;; [unrolled: 1-line block ×3, first 2 shown]
	v_pk_add_f32 v[8:9], v[42:43], v[40:41] neg_lo:[0,1] neg_hi:[0,1]
	s_waitcnt lgkmcnt(0)
	v_pk_add_f32 v[6:7], v[2:3], v[42:43]
	v_mov_b32_e32 v27, v29
	v_pk_add_f32 v[36:37], v[6:7], v[40:41]
	v_pk_add_f32 v[6:7], v[42:43], v[40:41]
	v_pk_add_f32 v[32:33], v[30:31], v[26:27] neg_lo:[0,1] neg_hi:[0,1]
	v_pk_fma_f32 v[2:3], v[6:7], 0.5, v[2:3] op_sel_hi:[1,0,1] neg_lo:[1,0,0] neg_hi:[1,0,0]
	v_pk_mul_f32 v[6:7], v[8:9], s[2:3] op_sel_hi:[1,0]
	v_pk_mul_f32 v[32:33], v[32:33], s[2:3] op_sel_hi:[1,0]
	v_pk_add_f32 v[8:9], v[2:3], v[6:7] op_sel:[0,1] op_sel_hi:[1,0] neg_lo:[0,1] neg_hi:[0,1]
	v_pk_add_f32 v[2:3], v[2:3], v[6:7] op_sel:[0,1] op_sel_hi:[1,0]
	v_mov_b32_e32 v6, v8
	v_mov_b32_e32 v7, v3
	v_mov_b32_e32 v3, v9
	ds_write_b64 v108, v[2:3] offset:10800
	v_pk_add_f32 v[2:3], v[4:5], v[34:35]
	ds_write_b64 v108, v[6:7] offset:5400
	v_pk_add_f32 v[2:3], v[2:3], v[38:39]
	ds_read2_b64 v[6:9], v153 offset0:14 offset1:149
	ds_write2_b64 v108, v[36:37], v[2:3] offset1:135
	v_pk_add_f32 v[2:3], v[34:35], v[38:39]
	v_mov_b32_e32 v19, v21
	v_pk_fma_f32 v[2:3], v[2:3], 0.5, v[4:5] op_sel_hi:[1,0,1] neg_lo:[1,0,0] neg_hi:[1,0,0]
	v_pk_add_f32 v[4:5], v[34:35], v[38:39] neg_lo:[0,1] neg_hi:[0,1]
	v_mov_b32_e32 v23, v25
	v_pk_mul_f32 v[4:5], v[4:5], s[2:3] op_sel_hi:[1,0]
	v_mov_b32_e32 v11, v13
	v_pk_add_f32 v[28:29], v[2:3], v[4:5] op_sel:[0,1] op_sel_hi:[1,0] neg_lo:[0,1] neg_hi:[0,1]
	v_pk_add_f32 v[2:3], v[2:3], v[4:5] op_sel:[0,1] op_sel_hi:[1,0]
	v_pk_add_f32 v[4:5], v[30:31], v[26:27]
	s_waitcnt lgkmcnt(1)
	v_pk_fma_f32 v[4:5], v[4:5], 0.5, v[6:7] op_sel_hi:[1,0,1] neg_lo:[1,0,0] neg_hi:[1,0,0]
	s_nop 0
	v_pk_add_f32 v[34:35], v[4:5], v[32:33] op_sel:[0,1] op_sel_hi:[1,0] neg_lo:[0,1] neg_hi:[0,1]
	v_pk_add_f32 v[4:5], v[4:5], v[32:33] op_sel:[0,1] op_sel_hi:[1,0]
	v_mov_b32_e32 v33, v3
	v_mov_b32_e32 v3, v29
	;; [unrolled: 1-line block ×4, first 2 shown]
	ds_write2_b64 v163, v[2:3], v[4:5] offset0:77 offset1:212
	v_pk_add_f32 v[2:3], v[6:7], v[30:31]
	v_pk_add_f32 v[4:5], v[8:9], v[18:19]
	;; [unrolled: 1-line block ×4, first 2 shown]
	ds_write2_b64 v153, v[2:3], v[4:5] offset0:14 offset1:149
	v_pk_add_f32 v[4:5], v[14:15], v[10:11]
	v_pk_add_f32 v[2:3], v[18:19], v[22:23]
	v_pk_fma_f32 v[4:5], v[4:5], 0.5, v[0:1] op_sel_hi:[1,0,1] neg_lo:[1,0,0] neg_hi:[1,0,0]
	v_pk_add_f32 v[0:1], v[0:1], v[14:15]
	v_pk_add_f32 v[6:7], v[18:19], v[22:23] neg_lo:[0,1] neg_hi:[0,1]
	v_pk_add_f32 v[0:1], v[0:1], v[10:11]
	v_pk_fma_f32 v[2:3], v[2:3], 0.5, v[8:9] op_sel_hi:[1,0,1] neg_lo:[1,0,0] neg_hi:[1,0,0]
	v_pk_mul_f32 v[6:7], v[6:7], s[2:3] op_sel_hi:[1,0]
	ds_write_b64 v108, v[0:1] offset:4320
	v_pk_add_f32 v[0:1], v[14:15], v[10:11] neg_lo:[0,1] neg_hi:[0,1]
	v_pk_add_f32 v[8:9], v[2:3], v[6:7] op_sel:[0,1] op_sel_hi:[1,0] neg_lo:[0,1] neg_hi:[0,1]
	v_pk_add_f32 v[2:3], v[2:3], v[6:7] op_sel:[0,1] op_sel_hi:[1,0]
	v_pk_mul_f32 v[0:1], v[0:1], s[2:3] op_sel_hi:[1,0]
	v_mov_b32_e32 v6, v8
	v_mov_b32_e32 v7, v3
	;; [unrolled: 1-line block ×3, first 2 shown]
	v_pk_add_f32 v[8:9], v[4:5], v[0:1] op_sel:[0,1] op_sel_hi:[1,0] neg_lo:[0,1] neg_hi:[0,1]
	v_pk_add_f32 v[0:1], v[4:5], v[0:1] op_sel:[0,1] op_sel_hi:[1,0]
	v_mov_b32_e32 v32, v28
	v_mov_b32_e32 v28, v34
	;; [unrolled: 1-line block ×5, first 2 shown]
	ds_write2_b64 v155, v[32:33], v[28:29] offset0:42 offset1:177
	ds_write2_b64 v151, v[6:7], v[4:5] offset0:56 offset1:191
	;; [unrolled: 1-line block ×3, first 2 shown]
	s_waitcnt lgkmcnt(0)
	s_barrier
	ds_read2_b64 v[0:3], v108 offset1:135
	v_mov_b32_e32 v8, s0
	v_mov_b32_e32 v9, s1
	s_mov_b32 s0, 0xc0898b71
	s_mov_b32 s1, 0x3f402e85
	s_waitcnt lgkmcnt(0)
	v_mul_f32_e32 v4, v145, v1
	v_fmac_f32_e32 v4, v144, v0
	v_mul_f32_e32 v0, v145, v0
	v_fma_f32 v0, v144, v1, -v0
	v_cvt_f64_f32_e32 v[0:1], v0
	v_cvt_f64_f32_e32 v[4:5], v4
	v_mul_f64 v[0:1], v[0:1], s[0:1]
	v_mul_f64 v[4:5], v[4:5], s[0:1]
	v_cvt_f32_f64_e32 v11, v[0:1]
	v_mad_u64_u32 v[0:1], s[2:3], s4, v112, 0
	v_cvt_f32_f64_e32 v10, v[4:5]
	v_mov_b32_e32 v4, v1
	v_mad_u64_u32 v[12:13], s[2:3], s5, v112, v[4:5]
	ds_read2_b64 v[4:7], v165 offset0:28 offset1:163
	v_mov_b32_e32 v111, v114
	v_mov_b32_e32 v1, v12
	v_lshl_add_u64 v[8:9], v[110:111], 3, v[8:9]
	v_lshl_add_u64 v[0:1], v[0:1], 3, v[8:9]
	s_waitcnt lgkmcnt(0)
	v_mul_f32_e32 v8, v117, v7
	v_fmac_f32_e32 v8, v116, v6
	v_mul_f32_e32 v6, v117, v6
	v_fma_f32 v6, v116, v7, -v6
	v_cvt_f64_f32_e32 v[8:9], v8
	v_cvt_f64_f32_e32 v[6:7], v6
	v_mul_f64 v[8:9], v[8:9], s[0:1]
	v_mul_f64 v[6:7], v[6:7], s[0:1]
	global_store_dwordx2 v[0:1], v[10:11], off
	v_cvt_f32_f64_e32 v10, v[8:9]
	v_cvt_f32_f64_e32 v11, v[6:7]
	ds_read2_b64 v[6:9], v161 offset0:70 offset1:205
	v_mad_u64_u32 v[0:1], s[2:3], s4, v115, v[0:1]
	s_mul_i32 s2, s5, 0x1518
	s_nop 0
	v_add_u32_e32 v1, s2, v1
	global_store_dwordx2 v[0:1], v[10:11], off
	s_waitcnt lgkmcnt(0)
	v_mul_f32_e32 v10, v143, v7
	v_fmac_f32_e32 v10, v142, v6
	v_mul_f32_e32 v6, v143, v6
	v_fma_f32 v6, v142, v7, -v6
	v_cvt_f64_f32_e32 v[10:11], v10
	v_cvt_f64_f32_e32 v[6:7], v6
	v_mul_f64 v[10:11], v[10:11], s[0:1]
	v_mul_f64 v[6:7], v[6:7], s[0:1]
	v_cvt_f32_f64_e32 v10, v[10:11]
	v_cvt_f32_f64_e32 v11, v[6:7]
	v_mul_f32_e32 v6, v139, v3
	v_fmac_f32_e32 v6, v138, v2
	v_mul_f32_e32 v2, v139, v2
	v_fma_f32 v2, v138, v3, -v2
	v_mad_u64_u32 v[0:1], s[6:7], s4, v115, v[0:1]
	v_cvt_f64_f32_e32 v[6:7], v6
	v_cvt_f64_f32_e32 v[2:3], v2
	v_add_u32_e32 v1, s2, v1
	v_mul_f64 v[6:7], v[6:7], s[0:1]
	v_mul_f64 v[2:3], v[2:3], s[0:1]
	global_store_dwordx2 v[0:1], v[10:11], off
	v_cvt_f32_f64_e32 v6, v[6:7]
	v_cvt_f32_f64_e32 v7, v[2:3]
	v_mad_u64_u32 v[10:11], s[6:7], s4, v149, v[0:1]
	ds_read2_b64 v[0:3], v155 offset0:42 offset1:177
	s_mul_i32 s3, s5, 0xffffda08
	s_sub_i32 s3, s3, s4
	v_add_u32_e32 v11, s3, v11
	global_store_dwordx2 v[10:11], v[6:7], off
	s_waitcnt lgkmcnt(0)
	v_mul_f32_e32 v6, v137, v1
	v_fmac_f32_e32 v6, v136, v0
	v_mul_f32_e32 v0, v137, v0
	v_fma_f32 v0, v136, v1, -v0
	v_cvt_f64_f32_e32 v[6:7], v6
	v_cvt_f64_f32_e32 v[0:1], v0
	v_mul_f64 v[6:7], v[6:7], s[0:1]
	v_mul_f64 v[0:1], v[0:1], s[0:1]
	v_cvt_f32_f64_e32 v6, v[6:7]
	v_cvt_f32_f64_e32 v7, v[0:1]
	v_mad_u64_u32 v[0:1], s[6:7], s4, v115, v[10:11]
	v_add_u32_e32 v1, s2, v1
	global_store_dwordx2 v[0:1], v[6:7], off
	v_mul_f32_e32 v6, v129, v9
	v_fmac_f32_e32 v6, v128, v8
	v_cvt_f64_f32_e32 v[6:7], v6
	v_mul_f64 v[6:7], v[6:7], s[0:1]
	v_cvt_f32_f64_e32 v10, v[6:7]
	v_mul_f32_e32 v6, v129, v8
	v_fma_f32 v6, v128, v9, -v6
	v_cvt_f64_f32_e32 v[6:7], v6
	v_mul_f64 v[6:7], v[6:7], s[0:1]
	v_cvt_f32_f64_e32 v11, v[6:7]
	ds_read2_b64 v[6:9], v153 offset0:14 offset1:149
	v_mad_u64_u32 v[0:1], s[6:7], s4, v115, v[0:1]
	v_add_u32_e32 v1, s2, v1
	global_store_dwordx2 v[0:1], v[10:11], off
	s_waitcnt lgkmcnt(0)
	v_mul_f32_e32 v10, v121, v7
	v_fmac_f32_e32 v10, v120, v6
	v_mul_f32_e32 v6, v121, v6
	v_fma_f32 v6, v120, v7, -v6
	v_cvt_f64_f32_e32 v[10:11], v10
	v_cvt_f64_f32_e32 v[6:7], v6
	v_mul_f64 v[10:11], v[10:11], s[0:1]
	v_mul_f64 v[6:7], v[6:7], s[0:1]
	v_cvt_f32_f64_e32 v10, v[10:11]
	v_cvt_f32_f64_e32 v11, v[6:7]
	v_mad_u64_u32 v[6:7], s[6:7], s4, v149, v[0:1]
	v_mul_f32_e32 v0, v123, v3
	v_fmac_f32_e32 v0, v122, v2
	v_cvt_f64_f32_e32 v[0:1], v0
	v_add_u32_e32 v7, s3, v7
	v_mul_f64 v[0:1], v[0:1], s[0:1]
	global_store_dwordx2 v[6:7], v[10:11], off
	v_cvt_f32_f64_e32 v10, v[0:1]
	v_mul_f32_e32 v0, v123, v2
	v_fma_f32 v0, v122, v3, -v0
	v_cvt_f64_f32_e32 v[0:1], v0
	v_mul_f64 v[0:1], v[0:1], s[0:1]
	v_cvt_f32_f64_e32 v11, v[0:1]
	ds_read2_b64 v[0:3], v159 offset0:84 offset1:219
	v_mad_u64_u32 v[6:7], s[6:7], s4, v115, v[6:7]
	v_add_u32_e32 v7, s2, v7
	global_store_dwordx2 v[6:7], v[10:11], off
	s_waitcnt lgkmcnt(0)
	v_mul_f32_e32 v10, v141, v1
	v_fmac_f32_e32 v10, v140, v0
	v_mul_f32_e32 v0, v141, v0
	v_fma_f32 v0, v140, v1, -v0
	v_cvt_f64_f32_e32 v[10:11], v10
	v_cvt_f64_f32_e32 v[0:1], v0
	v_mul_f64 v[10:11], v[10:11], s[0:1]
	v_mul_f64 v[0:1], v[0:1], s[0:1]
	v_cvt_f32_f64_e32 v10, v[10:11]
	v_cvt_f32_f64_e32 v11, v[0:1]
	v_mad_u64_u32 v[0:1], s[6:7], s4, v115, v[6:7]
	v_mul_f32_e32 v6, v135, v9
	v_fmac_f32_e32 v6, v134, v8
	v_cvt_f64_f32_e32 v[6:7], v6
	v_add_u32_e32 v1, s2, v1
	v_mul_f64 v[6:7], v[6:7], s[0:1]
	global_store_dwordx2 v[0:1], v[10:11], off
	v_cvt_f32_f64_e32 v10, v[6:7]
	v_mul_f32_e32 v6, v135, v8
	v_fma_f32 v6, v134, v9, -v6
	v_cvt_f64_f32_e32 v[6:7], v6
	v_mul_f64 v[6:7], v[6:7], s[0:1]
	v_cvt_f32_f64_e32 v11, v[6:7]
	ds_read2_b64 v[6:9], v151 offset0:56 offset1:191
	v_mad_u64_u32 v[0:1], s[6:7], s4, v149, v[0:1]
	v_add_u32_e32 v1, s3, v1
	global_store_dwordx2 v[0:1], v[10:11], off
	s_waitcnt lgkmcnt(0)
	v_mul_f32_e32 v10, v127, v7
	v_fmac_f32_e32 v10, v126, v6
	v_mul_f32_e32 v6, v127, v6
	v_fma_f32 v6, v126, v7, -v6
	v_cvt_f64_f32_e32 v[10:11], v10
	v_cvt_f64_f32_e32 v[6:7], v6
	v_mul_f64 v[10:11], v[10:11], s[0:1]
	v_mul_f64 v[6:7], v[6:7], s[0:1]
	v_cvt_f32_f64_e32 v10, v[10:11]
	v_cvt_f32_f64_e32 v11, v[6:7]
	v_mul_f32_e32 v6, v131, v3
	v_fmac_f32_e32 v6, v130, v2
	v_mul_f32_e32 v2, v131, v2
	v_fma_f32 v2, v130, v3, -v2
	v_cvt_f64_f32_e32 v[6:7], v6
	v_cvt_f64_f32_e32 v[2:3], v2
	v_mul_f64 v[6:7], v[6:7], s[0:1]
	v_mul_f64 v[2:3], v[2:3], s[0:1]
	v_cvt_f32_f64_e32 v6, v[6:7]
	v_cvt_f32_f64_e32 v7, v[2:3]
	v_mul_f32_e32 v2, v119, v5
	v_fmac_f32_e32 v2, v118, v4
	v_cvt_f64_f32_e32 v[2:3], v2
	v_mad_u64_u32 v[0:1], s[6:7], s4, v115, v[0:1]
	v_mul_f64 v[2:3], v[2:3], s[0:1]
	v_add_u32_e32 v1, s2, v1
	v_cvt_f32_f64_e32 v2, v[2:3]
	v_mul_f32_e32 v3, v119, v4
	global_store_dwordx2 v[0:1], v[10:11], off
	v_mad_u64_u32 v[0:1], s[6:7], s4, v115, v[0:1]
	v_fma_f32 v3, v118, v5, -v3
	v_add_u32_e32 v1, s2, v1
	v_cvt_f64_f32_e32 v[4:5], v3
	global_store_dwordx2 v[0:1], v[6:7], off
	v_mul_f64 v[4:5], v[4:5], s[0:1]
	v_mad_u64_u32 v[0:1], s[6:7], s4, v149, v[0:1]
	v_cvt_f32_f64_e32 v3, v[4:5]
	v_add_u32_e32 v1, s3, v1
	global_store_dwordx2 v[0:1], v[2:3], off
	v_mul_f32_e32 v2, v133, v9
	v_fmac_f32_e32 v2, v132, v8
	v_cvt_f64_f32_e32 v[2:3], v2
	v_mul_f64 v[2:3], v[2:3], s[0:1]
	v_cvt_f32_f64_e32 v2, v[2:3]
	v_mul_f32_e32 v3, v133, v8
	v_fma_f32 v3, v132, v9, -v3
	v_cvt_f64_f32_e32 v[4:5], v3
	v_mul_f64 v[4:5], v[4:5], s[0:1]
	v_cvt_f32_f64_e32 v3, v[4:5]
	ds_read_b64 v[4:5], v108 offset:15120
	v_mad_u64_u32 v[0:1], s[6:7], s4, v115, v[0:1]
	v_add_u32_e32 v1, s2, v1
	global_store_dwordx2 v[0:1], v[2:3], off
	s_waitcnt lgkmcnt(0)
	v_mul_f32_e32 v2, v125, v5
	v_fmac_f32_e32 v2, v124, v4
	v_cvt_f64_f32_e32 v[2:3], v2
	v_mul_f64 v[2:3], v[2:3], s[0:1]
	v_cvt_f32_f64_e32 v2, v[2:3]
	v_mul_f32_e32 v3, v125, v4
	v_fma_f32 v3, v124, v5, -v3
	v_cvt_f64_f32_e32 v[4:5], v3
	v_mul_f64 v[4:5], v[4:5], s[0:1]
	v_mad_u64_u32 v[0:1], s[0:1], s4, v115, v[0:1]
	v_cvt_f32_f64_e32 v3, v[4:5]
	v_add_u32_e32 v1, s2, v1
	global_store_dwordx2 v[0:1], v[2:3], off
.LBB0_2:
	s_endpgm
	.section	.rodata,"a",@progbits
	.p2align	6, 0x0
	.amdhsa_kernel bluestein_single_fwd_len2025_dim1_sp_op_CI_CI
		.amdhsa_group_segment_fixed_size 16200
		.amdhsa_private_segment_fixed_size 0
		.amdhsa_kernarg_size 104
		.amdhsa_user_sgpr_count 2
		.amdhsa_user_sgpr_dispatch_ptr 0
		.amdhsa_user_sgpr_queue_ptr 0
		.amdhsa_user_sgpr_kernarg_segment_ptr 1
		.amdhsa_user_sgpr_dispatch_id 0
		.amdhsa_user_sgpr_kernarg_preload_length 0
		.amdhsa_user_sgpr_kernarg_preload_offset 0
		.amdhsa_user_sgpr_private_segment_size 0
		.amdhsa_uses_dynamic_stack 0
		.amdhsa_enable_private_segment 0
		.amdhsa_system_sgpr_workgroup_id_x 1
		.amdhsa_system_sgpr_workgroup_id_y 0
		.amdhsa_system_sgpr_workgroup_id_z 0
		.amdhsa_system_sgpr_workgroup_info 0
		.amdhsa_system_vgpr_workitem_id 0
		.amdhsa_next_free_vgpr 240
		.amdhsa_next_free_sgpr 20
		.amdhsa_accum_offset 240
		.amdhsa_reserve_vcc 1
		.amdhsa_float_round_mode_32 0
		.amdhsa_float_round_mode_16_64 0
		.amdhsa_float_denorm_mode_32 3
		.amdhsa_float_denorm_mode_16_64 3
		.amdhsa_dx10_clamp 1
		.amdhsa_ieee_mode 1
		.amdhsa_fp16_overflow 0
		.amdhsa_tg_split 0
		.amdhsa_exception_fp_ieee_invalid_op 0
		.amdhsa_exception_fp_denorm_src 0
		.amdhsa_exception_fp_ieee_div_zero 0
		.amdhsa_exception_fp_ieee_overflow 0
		.amdhsa_exception_fp_ieee_underflow 0
		.amdhsa_exception_fp_ieee_inexact 0
		.amdhsa_exception_int_div_zero 0
	.end_amdhsa_kernel
	.text
.Lfunc_end0:
	.size	bluestein_single_fwd_len2025_dim1_sp_op_CI_CI, .Lfunc_end0-bluestein_single_fwd_len2025_dim1_sp_op_CI_CI
                                        ; -- End function
	.section	.AMDGPU.csdata,"",@progbits
; Kernel info:
; codeLenInByte = 16004
; NumSgprs: 26
; NumVgprs: 240
; NumAgprs: 0
; TotalNumVgprs: 240
; ScratchSize: 0
; MemoryBound: 0
; FloatMode: 240
; IeeeMode: 1
; LDSByteSize: 16200 bytes/workgroup (compile time only)
; SGPRBlocks: 3
; VGPRBlocks: 29
; NumSGPRsForWavesPerEU: 26
; NumVGPRsForWavesPerEU: 240
; AccumOffset: 240
; Occupancy: 2
; WaveLimiterHint : 1
; COMPUTE_PGM_RSRC2:SCRATCH_EN: 0
; COMPUTE_PGM_RSRC2:USER_SGPR: 2
; COMPUTE_PGM_RSRC2:TRAP_HANDLER: 0
; COMPUTE_PGM_RSRC2:TGID_X_EN: 1
; COMPUTE_PGM_RSRC2:TGID_Y_EN: 0
; COMPUTE_PGM_RSRC2:TGID_Z_EN: 0
; COMPUTE_PGM_RSRC2:TIDIG_COMP_CNT: 0
; COMPUTE_PGM_RSRC3_GFX90A:ACCUM_OFFSET: 59
; COMPUTE_PGM_RSRC3_GFX90A:TG_SPLIT: 0
	.text
	.p2alignl 6, 3212836864
	.fill 256, 4, 3212836864
	.type	__hip_cuid_751628df98b7678,@object ; @__hip_cuid_751628df98b7678
	.section	.bss,"aw",@nobits
	.globl	__hip_cuid_751628df98b7678
__hip_cuid_751628df98b7678:
	.byte	0                               ; 0x0
	.size	__hip_cuid_751628df98b7678, 1

	.ident	"AMD clang version 19.0.0git (https://github.com/RadeonOpenCompute/llvm-project roc-6.4.0 25133 c7fe45cf4b819c5991fe208aaa96edf142730f1d)"
	.section	".note.GNU-stack","",@progbits
	.addrsig
	.addrsig_sym __hip_cuid_751628df98b7678
	.amdgpu_metadata
---
amdhsa.kernels:
  - .agpr_count:     0
    .args:
      - .actual_access:  read_only
        .address_space:  global
        .offset:         0
        .size:           8
        .value_kind:     global_buffer
      - .actual_access:  read_only
        .address_space:  global
        .offset:         8
        .size:           8
        .value_kind:     global_buffer
      - .actual_access:  read_only
        .address_space:  global
        .offset:         16
        .size:           8
        .value_kind:     global_buffer
      - .actual_access:  read_only
        .address_space:  global
        .offset:         24
        .size:           8
        .value_kind:     global_buffer
      - .actual_access:  read_only
        .address_space:  global
        .offset:         32
        .size:           8
        .value_kind:     global_buffer
      - .offset:         40
        .size:           8
        .value_kind:     by_value
      - .address_space:  global
        .offset:         48
        .size:           8
        .value_kind:     global_buffer
      - .address_space:  global
        .offset:         56
        .size:           8
        .value_kind:     global_buffer
      - .address_space:  global
        .offset:         64
        .size:           8
        .value_kind:     global_buffer
      - .address_space:  global
        .offset:         72
        .size:           8
        .value_kind:     global_buffer
      - .offset:         80
        .size:           4
        .value_kind:     by_value
      - .address_space:  global
        .offset:         88
        .size:           8
        .value_kind:     global_buffer
      - .address_space:  global
        .offset:         96
        .size:           8
        .value_kind:     global_buffer
    .group_segment_fixed_size: 16200
    .kernarg_segment_align: 8
    .kernarg_segment_size: 104
    .language:       OpenCL C
    .language_version:
      - 2
      - 0
    .max_flat_workgroup_size: 135
    .name:           bluestein_single_fwd_len2025_dim1_sp_op_CI_CI
    .private_segment_fixed_size: 0
    .sgpr_count:     26
    .sgpr_spill_count: 0
    .symbol:         bluestein_single_fwd_len2025_dim1_sp_op_CI_CI.kd
    .uniform_work_group_size: 1
    .uses_dynamic_stack: false
    .vgpr_count:     240
    .vgpr_spill_count: 0
    .wavefront_size: 64
amdhsa.target:   amdgcn-amd-amdhsa--gfx950
amdhsa.version:
  - 1
  - 2
...

	.end_amdgpu_metadata
